;; amdgpu-corpus repo=ROCm/rocFFT kind=compiled arch=gfx906 opt=O3
	.text
	.amdgcn_target "amdgcn-amd-amdhsa--gfx906"
	.amdhsa_code_object_version 6
	.protected	bluestein_single_fwd_len891_dim1_dp_op_CI_CI ; -- Begin function bluestein_single_fwd_len891_dim1_dp_op_CI_CI
	.globl	bluestein_single_fwd_len891_dim1_dp_op_CI_CI
	.p2align	8
	.type	bluestein_single_fwd_len891_dim1_dp_op_CI_CI,@function
bluestein_single_fwd_len891_dim1_dp_op_CI_CI: ; @bluestein_single_fwd_len891_dim1_dp_op_CI_CI
; %bb.0:
	s_load_dwordx4 s[16:19], s[4:5], 0x28
	v_mul_u32_u24_e32 v1, 0x296, v0
	s_mov_b64 s[50:51], s[2:3]
	v_lshrrev_b32_e32 v36, 16, v1
	s_mov_b64 s[48:49], s[0:1]
	v_lshl_add_u32 v160, s6, 1, v36
	v_mov_b32_e32 v161, 0
	s_add_u32 s48, s48, s7
	s_waitcnt lgkmcnt(0)
	v_cmp_gt_u64_e32 vcc, s[16:17], v[160:161]
	s_addc_u32 s49, s49, 0
	s_and_saveexec_b64 s[0:1], vcc
	s_cbranch_execz .LBB0_10
; %bb.1:
	s_load_dwordx4 s[8:11], s[4:5], 0x18
	s_load_dwordx4 s[12:15], s[4:5], 0x0
	v_mul_lo_u16_e32 v1, 0x63, v36
	v_sub_u16_e32 v255, v0, v1
	v_lshlrev_b32_e32 v77, 4, v255
	s_waitcnt lgkmcnt(0)
	s_load_dwordx4 s[0:3], s[8:9], 0x0
	v_and_b32_e32 v36, 1, v36
	s_mov_b32 s20, 0xa2cf5039
	s_mov_b32 s21, 0x3fe8836f
	;; [unrolled: 1-line block ×3, first 2 shown]
	s_waitcnt lgkmcnt(0)
	v_mad_u64_u32 v[0:1], s[6:7], s2, v160, 0
	v_mad_u64_u32 v[2:3], s[6:7], s0, v255, 0
	s_mul_hi_u32 s6, s0, 0x630
	s_mulk_i32 s0, 0x630
	v_mad_u64_u32 v[4:5], s[2:3], s3, v160, v[1:2]
	s_mov_b32 s7, 0x3fe491b7
	s_mov_b32 s23, 0x3fc63a1a
	v_mad_u64_u32 v[5:6], s[2:3], s1, v255, v[3:4]
	v_mov_b32_e32 v1, v4
	v_lshlrev_b64 v[0:1], 4, v[0:1]
	v_mov_b32_e32 v6, s19
	v_mov_b32_e32 v3, v5
	v_add_co_u32_e32 v4, vcc, s18, v0
	v_addc_co_u32_e32 v5, vcc, v6, v1, vcc
	v_lshlrev_b64 v[0:1], 4, v[2:3]
	v_mov_b32_e32 v2, s13
	v_add_co_u32_e32 v0, vcc, v4, v0
	v_add_co_u32_e64 v201, s[2:3], s12, v77
	s_mulk_i32 s1, 0x630
	v_addc_co_u32_e32 v1, vcc, v5, v1, vcc
	v_addc_co_u32_e64 v73, vcc, 0, v2, s[2:3]
	s_add_i32 s1, s6, s1
	v_mov_b32_e32 v3, s1
	v_add_co_u32_e32 v2, vcc, s0, v0
	v_addc_co_u32_e32 v3, vcc, v1, v3, vcc
	global_load_dwordx4 v[37:40], v[0:1], off
	global_load_dwordx4 v[41:44], v[2:3], off
	global_load_dwordx4 v[32:35], v77, s[12:13]
	global_load_dwordx4 v[20:23], v77, s[12:13] offset:1584
	v_mov_b32_e32 v1, s1
	v_add_co_u32_e32 v0, vcc, s0, v2
	v_addc_co_u32_e32 v1, vcc, v3, v1, vcc
	v_mov_b32_e32 v3, s1
	v_add_co_u32_e32 v2, vcc, s0, v0
	v_addc_co_u32_e32 v3, vcc, v1, v3, vcc
	s_movk_i32 s6, 0x1000
	global_load_dwordx4 v[4:7], v77, s[12:13] offset:3168
	global_load_dwordx4 v[45:48], v[0:1], off
	global_load_dwordx4 v[49:52], v[2:3], off
	v_add_co_u32_e32 v0, vcc, s6, v201
	v_addc_co_u32_e32 v1, vcc, 0, v73, vcc
	v_mov_b32_e32 v8, s1
	v_add_co_u32_e32 v2, vcc, s0, v2
	v_addc_co_u32_e32 v3, vcc, v3, v8, vcc
	global_load_dwordx4 v[53:56], v[2:3], off
	global_load_dwordx4 v[28:31], v[0:1], off offset:656
	global_load_dwordx4 v[12:15], v[0:1], off offset:2240
	v_add_co_u32_e32 v2, vcc, s0, v2
	v_addc_co_u32_e32 v3, vcc, v3, v8, vcc
	global_load_dwordx4 v[57:60], v[2:3], off
	global_load_dwordx4 v[8:11], v[0:1], off offset:3824
	v_mov_b32_e32 v1, s1
	v_add_co_u32_e32 v0, vcc, s0, v2
	v_addc_co_u32_e32 v1, vcc, v3, v1, vcc
	s_movk_i32 s6, 0x2000
	v_add_co_u32_e32 v16, vcc, s6, v201
	v_addc_co_u32_e32 v17, vcc, 0, v73, vcc
	v_mov_b32_e32 v2, s1
	v_add_co_u32_e32 v18, vcc, s0, v0
	v_addc_co_u32_e32 v19, vcc, v1, v2, vcc
	global_load_dwordx4 v[61:64], v[0:1], off
	global_load_dwordx4 v[65:68], v[18:19], off
	global_load_dwordx4 v[24:27], v[16:17], off offset:1312
	s_nop 0
	global_load_dwordx4 v[0:3], v[16:17], off offset:2896
	v_mov_b32_e32 v17, s1
	v_add_co_u32_e32 v16, vcc, s0, v18
	v_addc_co_u32_e32 v17, vcc, v19, v17, vcc
	s_movk_i32 s0, 0x3000
	global_load_dwordx4 v[69:72], v[16:17], off
	v_add_co_u32_e32 v16, vcc, s0, v201
	v_addc_co_u32_e32 v17, vcc, 0, v73, vcc
	global_load_dwordx4 v[16:19], v[16:17], off offset:384
	v_cmp_eq_u32_e32 vcc, 1, v36
	s_load_dwordx4 s[8:11], s[10:11], 0x0
	s_mov_b32 s6, 0x523c161c
	s_mov_b32 s18, 0x8c811c17
	;; [unrolled: 1-line block ×11, first 2 shown]
	s_load_dwordx2 s[4:5], s[4:5], 0x38
                                        ; implicit-def: $vgpr112_vgpr113
                                        ; implicit-def: $vgpr116_vgpr117
	s_waitcnt vmcnt(15)
	v_mul_f64 v[73:74], v[39:40], v[34:35]
	v_mul_f64 v[75:76], v[37:38], v[34:35]
	v_fma_f64 v[37:38], v[37:38], v[32:33], v[73:74]
	v_fma_f64 v[39:40], v[39:40], v[32:33], -v[75:76]
	v_mov_b32_e32 v73, 0x37b
	v_cndmask_b32_e32 v36, 0, v73, vcc
	v_lshlrev_b32_e32 v247, 4, v36
	v_add_u32_e32 v197, v247, v77
	s_waitcnt vmcnt(12)
	v_mul_f64 v[73:74], v[47:48], v[6:7]
	v_mul_f64 v[75:76], v[45:46], v[6:7]
	ds_write_b128 v197, v[37:40]
	v_mul_f64 v[36:37], v[43:44], v[22:23]
	v_mul_f64 v[38:39], v[41:42], v[22:23]
	s_waitcnt vmcnt(9)
	v_mul_f64 v[77:78], v[51:52], v[30:31]
	v_mul_f64 v[79:80], v[49:50], v[30:31]
	s_waitcnt vmcnt(8)
	v_mul_f64 v[81:82], v[55:56], v[14:15]
	v_mul_f64 v[83:84], v[53:54], v[14:15]
	v_fma_f64 v[36:37], v[41:42], v[20:21], v[36:37]
	v_fma_f64 v[38:39], v[43:44], v[20:21], -v[38:39]
	v_fma_f64 v[40:41], v[45:46], v[4:5], v[73:74]
	v_fma_f64 v[42:43], v[47:48], v[4:5], -v[75:76]
	;; [unrolled: 2-line block ×4, first 2 shown]
	s_waitcnt vmcnt(6)
	v_mul_f64 v[52:53], v[59:60], v[10:11]
	v_mul_f64 v[54:55], v[57:58], v[10:11]
	v_fma_f64 v[52:53], v[57:58], v[8:9], v[52:53]
	v_fma_f64 v[54:55], v[59:60], v[8:9], -v[54:55]
	s_waitcnt vmcnt(3)
	v_mul_f64 v[73:74], v[63:64], v[26:27]
	v_mul_f64 v[75:76], v[61:62], v[26:27]
	s_waitcnt vmcnt(2)
	v_mul_f64 v[77:78], v[67:68], v[2:3]
	v_mul_f64 v[79:80], v[65:66], v[2:3]
	v_fma_f64 v[56:57], v[61:62], v[24:25], v[73:74]
	v_fma_f64 v[58:59], v[63:64], v[24:25], -v[75:76]
	v_fma_f64 v[60:61], v[65:66], v[0:1], v[77:78]
	v_fma_f64 v[62:63], v[67:68], v[0:1], -v[79:80]
	s_waitcnt vmcnt(0)
	v_mul_f64 v[81:82], v[71:72], v[18:19]
	v_mul_f64 v[83:84], v[69:70], v[18:19]
	v_fma_f64 v[64:65], v[69:70], v[16:17], v[81:82]
	v_fma_f64 v[66:67], v[71:72], v[16:17], -v[83:84]
	ds_write_b128 v197, v[36:39] offset:1584
	ds_write_b128 v197, v[40:43] offset:3168
	;; [unrolled: 1-line block ×8, first 2 shown]
	s_waitcnt lgkmcnt(0)
	s_barrier
	ds_read_b128 v[36:39], v197
	ds_read_b128 v[40:43], v197 offset:1584
	ds_read_b128 v[44:47], v197 offset:12672
	;; [unrolled: 1-line block ×6, first 2 shown]
	s_waitcnt lgkmcnt(4)
	v_add_f64 v[72:73], v[40:41], -v[44:45]
	v_add_f64 v[74:75], v[42:43], -v[46:47]
	v_add_f64 v[40:41], v[40:41], v[44:45]
	v_add_f64 v[42:43], v[42:43], v[46:47]
	s_waitcnt lgkmcnt(0)
	v_add_f64 v[84:85], v[48:49], -v[60:61]
	v_add_f64 v[86:87], v[50:51], -v[62:63]
	;; [unrolled: 1-line block ×4, first 2 shown]
	v_mul_f64 v[76:77], v[72:73], s[6:7]
	v_mul_f64 v[78:79], v[74:75], s[6:7]
	v_add_f64 v[48:49], v[48:49], v[60:61]
	v_add_f64 v[50:51], v[50:51], v[62:63]
	;; [unrolled: 1-line block ×4, first 2 shown]
	ds_read_b128 v[64:67], v197 offset:6336
	ds_read_b128 v[68:71], v197 offset:7920
	s_mov_b32 s7, 0xbfe491b7
	v_fma_f64 v[76:77], v[84:85], s[18:19], v[76:77]
	v_fma_f64 v[78:79], v[86:87], s[18:19], v[78:79]
	s_waitcnt lgkmcnt(0)
	v_add_f64 v[60:61], v[64:65], -v[68:69]
	v_add_f64 v[62:63], v[66:67], -v[70:71]
	v_add_f64 v[92:93], v[64:65], v[68:69]
	v_add_f64 v[94:95], v[66:67], v[70:71]
	s_barrier
	v_fma_f64 v[56:57], v[44:45], s[0:1], v[76:77]
	v_fma_f64 v[58:59], v[46:47], s[0:1], v[78:79]
	;; [unrolled: 1-line block ×4, first 2 shown]
	v_mul_f64 v[80:81], v[60:61], s[6:7]
	v_mul_f64 v[82:83], v[62:63], s[6:7]
	v_fma_f64 v[88:89], v[92:93], s[20:21], v[36:37]
	v_fma_f64 v[90:91], v[94:95], s[20:21], v[38:39]
	;; [unrolled: 1-line block ×10, first 2 shown]
	v_add_f64 v[96:97], v[60:61], v[72:73]
	v_add_f64 v[98:99], v[62:63], v[74:75]
	v_fma_f64 v[76:77], v[52:53], -0.5, v[76:77]
	v_fma_f64 v[78:79], v[54:55], -0.5, v[78:79]
	v_fma_f64 v[80:81], v[44:45], s[26:27], v[80:81]
	v_fma_f64 v[82:83], v[46:47], s[26:27], v[82:83]
	v_fma_f64 v[88:89], v[52:53], -0.5, v[88:89]
	v_fma_f64 v[90:91], v[54:55], -0.5, v[90:91]
	v_fma_f64 v[76:77], v[92:93], s[24:25], v[76:77]
	v_fma_f64 v[78:79], v[94:95], s[24:25], v[78:79]
	;; [unrolled: 1-line block ×6, first 2 shown]
	v_add_f64 v[76:77], v[58:59], v[76:77]
	v_add_f64 v[78:79], v[78:79], -v[56:57]
	v_add_f64 v[80:81], v[80:81], v[102:103]
	v_add_f64 v[82:83], v[82:83], -v[100:101]
	v_fma_f64 v[88:89], v[58:59], -2.0, v[76:77]
	v_fma_f64 v[90:91], v[56:57], 2.0, v[78:79]
	v_mul_f64 v[56:57], v[60:61], s[18:19]
	v_mul_f64 v[58:59], v[62:63], s[18:19]
	v_add_f64 v[60:61], v[96:97], -v[84:85]
	v_add_f64 v[62:63], v[98:99], -v[86:87]
	v_fma_f64 v[96:97], v[48:49], s[20:21], v[36:37]
	v_fma_f64 v[98:99], v[50:51], s[20:21], v[38:39]
	v_add_f64 v[48:49], v[48:49], v[40:41]
	v_add_f64 v[50:51], v[50:51], v[42:43]
	v_fma_f64 v[56:57], v[84:85], s[6:7], -v[56:57]
	v_fma_f64 v[58:59], v[86:87], s[6:7], -v[58:59]
	v_add_f64 v[84:85], v[36:37], v[52:53]
	v_add_f64 v[86:87], v[38:39], v[54:55]
	v_fma_f64 v[96:97], v[92:93], s[22:23], v[96:97]
	v_fma_f64 v[98:99], v[94:95], s[22:23], v[98:99]
	v_add_f64 v[92:93], v[92:93], v[48:49]
	v_add_f64 v[94:95], v[94:95], v[50:51]
	v_fma_f64 v[44:45], v[44:45], s[0:1], v[56:57]
	v_fma_f64 v[46:47], v[46:47], s[0:1], v[58:59]
	v_add_f64 v[48:49], v[52:53], v[48:49]
	v_add_f64 v[50:51], v[54:55], v[50:51]
	v_fma_f64 v[52:53], v[52:53], -0.5, v[96:97]
	v_fma_f64 v[54:55], v[54:55], -0.5, v[98:99]
	;; [unrolled: 1-line block ×4, first 2 shown]
	v_fma_f64 v[44:45], v[72:73], s[16:17], v[44:45]
	v_fma_f64 v[46:47], v[74:75], s[16:17], v[46:47]
	v_add_f64 v[48:49], v[64:65], v[48:49]
	v_add_f64 v[50:51], v[66:67], v[50:51]
	v_fma_f64 v[40:41], v[40:41], s[24:25], v[52:53]
	v_fma_f64 v[42:43], v[42:43], s[24:25], v[54:55]
	v_mul_f64 v[52:53], v[60:61], s[0:1]
	v_mul_f64 v[54:55], v[62:63], s[0:1]
	v_fma_f64 v[92:93], v[62:63], s[0:1], v[56:57]
	v_fma_f64 v[94:95], v[60:61], s[26:27], v[58:59]
	v_add_f64 v[48:49], v[68:69], v[48:49]
	v_add_f64 v[50:51], v[70:71], v[50:51]
	;; [unrolled: 1-line block ×3, first 2 shown]
	v_add_f64 v[98:99], v[42:43], -v[44:45]
	v_fma_f64 v[108:109], v[102:103], -2.0, v[80:81]
	v_fma_f64 v[110:111], v[100:101], 2.0, v[82:83]
	v_fma_f64 v[104:105], v[54:55], -2.0, v[92:93]
	v_fma_f64 v[106:107], v[52:53], 2.0, v[94:95]
	v_add_f64 v[84:85], v[36:37], v[48:49]
	v_add_f64 v[86:87], v[38:39], v[50:51]
	v_fma_f64 v[100:101], v[46:47], -2.0, v[96:97]
	v_fma_f64 v[102:103], v[44:45], 2.0, v[98:99]
	v_mul_lo_u16_e32 v36, 9, v255
	s_movk_i32 s0, 0x51
	v_lshl_add_u32 v202, v36, 4, v247
	v_cmp_gt_u16_e64 s[0:1], s0, v255
	ds_write_b128 v202, v[84:87]
	ds_write_b128 v202, v[76:79] offset:16
	ds_write_b128 v202, v[80:83] offset:32
	ds_write_b128 v202, v[92:95] offset:48
	ds_write_b128 v202, v[96:99] offset:64
	ds_write_b128 v202, v[100:103] offset:80
	ds_write_b128 v202, v[104:107] offset:96
	ds_write_b128 v202, v[108:111] offset:112
	ds_write_b128 v202, v[88:91] offset:128
	s_waitcnt lgkmcnt(0)
	s_barrier
	s_and_saveexec_b64 s[6:7], s[0:1]
	s_cbranch_execz .LBB0_3
; %bb.2:
	ds_read_b128 v[84:87], v197
	ds_read_b128 v[76:79], v197 offset:1296
	ds_read_b128 v[80:83], v197 offset:2592
	;; [unrolled: 1-line block ×10, first 2 shown]
.LBB0_3:
	s_or_b64 exec, exec, s[6:7]
	v_mov_b32_e32 v36, 57
	v_mul_lo_u16_sdwa v36, v255, v36 dst_sel:DWORD dst_unused:UNUSED_PAD src0_sel:BYTE_0 src1_sel:DWORD
	v_lshrrev_b16_e32 v198, 9, v36
	v_mul_lo_u16_e32 v36, 9, v198
	v_sub_u16_e32 v248, v255, v36
	v_mov_b32_e32 v36, 10
	v_mul_u32_u24_sdwa v36, v248, v36 dst_sel:DWORD dst_unused:UNUSED_PAD src0_sel:BYTE_0 src1_sel:DWORD
	v_lshlrev_b32_e32 v68, 4, v36
	global_load_dwordx4 v[40:43], v68, s[14:15]
	global_load_dwordx4 v[36:39], v68, s[14:15] offset:16
	global_load_dwordx4 v[44:47], v68, s[14:15] offset:32
	;; [unrolled: 1-line block ×8, first 2 shown]
	s_nop 0
	global_load_dwordx4 v[68:71], v68, s[14:15] offset:112
	s_mov_b32 s20, 0xf8bb580b
	s_mov_b32 s36, 0x8eee2c13
	s_mov_b32 s21, 0xbfe14ced
	s_mov_b32 s37, 0xbfed1bb4
	s_mov_b32 s16, 0x8764f0ba
	s_mov_b32 s18, 0xd9c712b6
	s_mov_b32 s30, 0xbb3a28a1
	s_mov_b32 s17, 0x3feaeb8c
	s_mov_b32 s19, 0x3fda9628
	s_mov_b32 s31, 0xbfe82f19
	s_mov_b32 s26, 0x43842ef
	s_mov_b32 s24, 0x7f775887
	s_mov_b32 s34, 0xfd768dbf
	s_mov_b32 s27, 0xbfefac9e
	s_mov_b32 s25, 0xbfe4f49e
	s_mov_b32 s35, 0x3fd207e7
	s_mov_b32 s22, 0x640f44db
	s_mov_b32 s28, 0x9bcd5057
	s_mov_b32 s23, 0xbfc2375f
	s_mov_b32 s29, 0xbfeeb42a
	s_mov_b32 s39, 0x3fefac9e
	s_mov_b32 s38, s26
	s_mov_b32 s41, 0xbfd207e7
	s_mov_b32 s40, s34
	s_mov_b32 s45, 0x3fe14ced
	s_mov_b32 s44, s20
	s_waitcnt vmcnt(0) lgkmcnt(0)
	s_barrier
	v_mul_f64 v[120:121], v[78:79], v[42:43]
	v_mul_f64 v[122:123], v[76:77], v[42:43]
	;; [unrolled: 1-line block ×10, first 2 shown]
	v_fma_f64 v[128:129], v[76:77], v[40:41], -v[120:121]
	v_fma_f64 v[134:135], v[78:79], v[40:41], v[122:123]
	v_mul_f64 v[140:141], v[92:93], v[46:47]
	v_mul_f64 v[144:145], v[96:97], v[50:51]
	v_fma_f64 v[130:131], v[118:119], v[52:53], v[126:127]
	v_fma_f64 v[116:117], v[116:117], v[52:53], -v[158:159]
	v_mul_f64 v[146:147], v[102:103], v[66:67]
	v_mul_f64 v[152:153], v[104:105], v[62:63]
	;; [unrolled: 1-line block ×5, first 2 shown]
	v_fma_f64 v[126:127], v[80:81], v[36:37], -v[124:125]
	v_fma_f64 v[136:137], v[82:83], v[36:37], v[132:133]
	v_fma_f64 v[132:133], v[114:115], v[56:57], v[161:162]
	v_fma_f64 v[112:113], v[112:113], v[56:57], -v[167:168]
	v_fma_f64 v[118:119], v[104:105], v[60:61], -v[150:151]
	v_add_f64 v[104:105], v[134:135], -v[130:131]
	v_add_f64 v[223:224], v[128:129], -v[116:117]
	v_mul_f64 v[142:143], v[98:99], v[50:51]
	v_mul_f64 v[154:155], v[110:111], v[74:75]
	v_fma_f64 v[124:125], v[92:93], v[44:45], -v[138:139]
	v_fma_f64 v[138:139], v[94:95], v[44:45], v[140:141]
	v_fma_f64 v[140:141], v[98:99], v[48:49], v[144:145]
	v_fma_f64 v[120:121], v[100:101], v[64:65], -v[146:147]
	v_fma_f64 v[144:145], v[90:91], v[68:69], v[165:166]
	v_fma_f64 v[146:147], v[106:107], v[60:61], v[152:153]
	v_fma_f64 v[114:115], v[88:89], v[68:69], -v[163:164]
	v_fma_f64 v[110:111], v[110:111], v[72:73], v[156:157]
	v_add_f64 v[183:184], v[128:129], v[116:117]
	v_add_f64 v[249:250], v[136:137], -v[132:133]
	v_add_f64 v[106:107], v[134:135], v[130:131]
	v_add_f64 v[231:232], v[126:127], -v[112:113]
	v_mul_f64 v[243:244], v[104:105], s[20:21]
	v_mul_f64 v[156:157], v[223:224], s[20:21]
	;; [unrolled: 1-line block ×5, first 2 shown]
	v_fma_f64 v[122:123], v[96:97], v[48:49], -v[142:143]
	v_fma_f64 v[108:109], v[108:109], v[72:73], -v[154:155]
	v_add_f64 v[187:188], v[126:127], v[112:113]
	v_add_f64 v[185:186], v[136:137], v[132:133]
	v_add_f64 v[251:252], v[138:139], -v[144:145]
	v_add_f64 v[235:236], v[124:125], -v[114:115]
	v_mul_f64 v[150:151], v[249:250], s[36:37]
	v_mul_f64 v[161:162], v[231:232], s[36:37]
	;; [unrolled: 1-line block ×4, first 2 shown]
	v_fma_f64 v[76:77], v[183:184], s[16:17], v[243:244]
	v_fma_f64 v[78:79], v[106:107], s[16:17], -v[156:157]
	v_fma_f64 v[80:81], v[183:184], s[18:19], v[169:170]
	v_fma_f64 v[82:83], v[106:107], s[18:19], -v[175:176]
	v_fma_f64 v[142:143], v[102:103], v[64:65], v[148:149]
	v_add_f64 v[193:194], v[124:125], v[114:115]
	v_add_f64 v[189:190], v[138:139], v[144:145]
	v_add_f64 v[253:254], v[140:141], -v[110:111]
	v_add_f64 v[237:238], v[122:123], -v[108:109]
	v_mul_f64 v[152:153], v[251:252], s[26:27]
	v_mul_f64 v[163:164], v[235:236], s[26:27]
	;; [unrolled: 1-line block ×4, first 2 shown]
	v_fma_f64 v[88:89], v[187:188], s[18:19], v[150:151]
	v_fma_f64 v[90:91], v[185:186], s[18:19], -v[161:162]
	v_fma_f64 v[92:93], v[187:188], s[24:25], v[171:172]
	v_fma_f64 v[94:95], v[185:186], s[24:25], -v[213:214]
	v_add_f64 v[76:77], v[84:85], v[76:77]
	v_add_f64 v[78:79], v[86:87], v[78:79]
	;; [unrolled: 1-line block ×6, first 2 shown]
	v_add_f64 v[181:182], v[142:143], -v[146:147]
	v_add_f64 v[239:240], v[120:121], -v[118:119]
	v_mul_f64 v[154:155], v[253:254], s[30:31]
	v_mul_f64 v[165:166], v[237:238], s[30:31]
	v_fma_f64 v[96:97], v[193:194], s[22:23], v[152:153]
	v_fma_f64 v[98:99], v[189:190], s[22:23], -v[163:164]
	v_fma_f64 v[100:101], v[193:194], s[28:29], v[173:174]
	v_fma_f64 v[102:103], v[189:190], s[28:29], -v[215:216]
	v_add_f64 v[76:77], v[88:89], v[76:77]
	v_add_f64 v[78:79], v[90:91], v[78:79]
	;; [unrolled: 1-line block ×4, first 2 shown]
	v_mul_f64 v[177:178], v[253:254], s[38:39]
	v_mul_f64 v[229:230], v[237:238], s[38:39]
	v_add_f64 v[207:208], v[120:121], v[118:119]
	v_add_f64 v[195:196], v[142:143], v[146:147]
	v_mul_f64 v[158:159], v[181:182], s[40:41]
	v_mul_f64 v[167:168], v[239:240], s[40:41]
	v_fma_f64 v[88:89], v[199:200], s[24:25], v[154:155]
	v_fma_f64 v[90:91], v[191:192], s[24:25], -v[165:166]
	v_add_f64 v[76:77], v[96:97], v[76:77]
	v_add_f64 v[78:79], v[98:99], v[78:79]
	;; [unrolled: 1-line block ×4, first 2 shown]
	v_fma_f64 v[92:93], v[199:200], s[22:23], v[177:178]
	v_fma_f64 v[94:95], v[191:192], s[22:23], -v[229:230]
	v_mul_f64 v[179:180], v[181:182], s[44:45]
	v_mul_f64 v[233:234], v[239:240], s[44:45]
	v_add_f64 v[76:77], v[88:89], v[76:77]
	v_add_f64 v[78:79], v[90:91], v[78:79]
	v_fma_f64 v[88:89], v[207:208], s[28:29], v[158:159]
	v_fma_f64 v[90:91], v[195:196], s[28:29], -v[167:168]
	v_add_f64 v[92:93], v[92:93], v[80:81]
	v_add_f64 v[94:95], v[94:95], v[82:83]
	v_fma_f64 v[96:97], v[207:208], s[16:17], v[179:180]
	v_fma_f64 v[98:99], v[195:196], s[16:17], -v[233:234]
	v_add_f64 v[80:81], v[88:89], v[76:77]
	v_add_f64 v[82:83], v[90:91], v[78:79]
	;; [unrolled: 1-line block ×4, first 2 shown]
	s_and_saveexec_b64 s[6:7], s[0:1]
	s_cbranch_execz .LBB0_5
; %bb.4:
	v_mul_f64 v[88:89], v[183:184], s[16:17]
	v_mul_f64 v[148:149], v[106:107], s[28:29]
	;; [unrolled: 1-line block ×6, first 2 shown]
	s_mov_b32 s47, 0x3fe82f19
	s_mov_b32 s46, s30
	buffer_store_dword v88, off, s[48:51], 0 ; 4-byte Folded Spill
	s_nop 0
	buffer_store_dword v89, off, s[48:51], 0 offset:4 ; 4-byte Folded Spill
	v_mul_f64 v[88:89], v[106:107], s[16:17]
	v_fma_f64 v[205:206], v[223:224], s[34:35], v[148:149]
	v_fma_f64 v[102:103], v[231:232], s[20:21], v[100:101]
	;; [unrolled: 1-line block ×4, first 2 shown]
	v_mul_f64 v[94:95], v[191:192], s[18:19]
	v_fma_f64 v[98:99], v[235:236], s[46:47], v[96:97]
	v_mul_f64 v[203:204], v[251:252], s[30:31]
	buffer_store_dword v88, off, s[48:51], 0 offset:24 ; 4-byte Folded Spill
	s_nop 0
	buffer_store_dword v89, off, s[48:51], 0 offset:28 ; 4-byte Folded Spill
	v_mul_f64 v[88:89], v[183:184], s[18:19]
	v_add_f64 v[205:206], v[86:87], v[205:206]
	v_fma_f64 v[217:218], v[187:188], s[16:17], v[211:212]
	v_add_f64 v[225:226], v[84:85], v[225:226]
	v_fma_f64 v[100:101], v[231:232], s[44:45], v[100:101]
	v_add_f64 v[148:149], v[86:87], v[148:149]
	s_mov_b32 s43, 0x3fed1bb4
	s_mov_b32 s42, s36
	buffer_store_dword v88, off, s[48:51], 0 offset:64 ; 4-byte Folded Spill
	s_nop 0
	buffer_store_dword v89, off, s[48:51], 0 offset:68 ; 4-byte Folded Spill
	v_mul_f64 v[88:89], v[106:107], s[18:19]
	v_add_f64 v[102:103], v[102:103], v[205:206]
	v_mul_f64 v[92:93], v[195:196], s[22:23]
	v_fma_f64 v[90:91], v[237:238], s[36:37], v[94:95]
	v_fma_f64 v[209:210], v[193:194], s[24:25], v[203:204]
	v_add_f64 v[217:218], v[217:218], v[225:226]
	v_fma_f64 v[96:97], v[235:236], s[30:31], v[96:97]
	v_add_f64 v[100:101], v[100:101], v[148:149]
	buffer_store_dword v88, off, s[48:51], 0 offset:104 ; 4-byte Folded Spill
	s_nop 0
	buffer_store_dword v89, off, s[48:51], 0 offset:108 ; 4-byte Folded Spill
	v_mul_f64 v[88:89], v[187:188], s[18:19]
	v_add_f64 v[98:99], v[98:99], v[102:103]
	v_mul_f64 v[102:103], v[253:254], s[42:43]
	v_fma_f64 v[94:95], v[237:238], s[42:43], v[94:95]
	v_add_f64 v[209:210], v[209:210], v[217:218]
	v_mul_f64 v[148:149], v[189:190], s[16:17]
	v_add_f64 v[96:97], v[96:97], v[100:101]
	v_fma_f64 v[100:101], v[187:188], s[16:17], -v[211:212]
	buffer_store_dword v88, off, s[48:51], 0 offset:8 ; 4-byte Folded Spill
	s_nop 0
	buffer_store_dword v89, off, s[48:51], 0 offset:12 ; 4-byte Folded Spill
	v_mul_f64 v[88:89], v[185:186], s[18:19]
	v_add_f64 v[90:91], v[90:91], v[98:99]
	v_mul_f64 v[98:99], v[181:182], s[26:27]
	v_fma_f64 v[205:206], v[199:200], s[18:19], v[102:103]
	v_mul_f64 v[211:212], v[106:107], s[24:25]
	v_add_f64 v[94:95], v[94:95], v[96:97]
	v_fma_f64 v[96:97], v[199:200], s[18:19], -v[102:103]
	v_fma_f64 v[102:103], v[183:184], s[28:29], -v[219:220]
	buffer_store_dword v88, off, s[48:51], 0 offset:40 ; 4-byte Folded Spill
	s_nop 0
	buffer_store_dword v89, off, s[48:51], 0 offset:44 ; 4-byte Folded Spill
	v_mul_f64 v[88:89], v[187:188], s[24:25]
	v_mul_f64 v[241:242], v[104:105], s[30:31]
	v_add_f64 v[205:206], v[205:206], v[209:210]
	v_fma_f64 v[217:218], v[223:224], s[46:47], v[211:212]
	v_fma_f64 v[211:212], v[223:224], s[30:31], v[211:212]
	v_mul_f64 v[221:222], v[249:250], s[38:39]
	v_add_f64 v[102:103], v[84:85], v[102:103]
	v_mul_f64 v[219:220], v[251:252], s[20:21]
	buffer_store_dword v88, off, s[48:51], 0 offset:80 ; 4-byte Folded Spill
	s_nop 0
	buffer_store_dword v89, off, s[48:51], 0 offset:84 ; 4-byte Folded Spill
	v_mul_f64 v[88:89], v[185:186], s[24:25]
	v_fma_f64 v[245:246], v[183:184], s[24:25], v[241:242]
	v_add_f64 v[217:218], v[86:87], v[217:218]
	v_add_f64 v[211:212], v[86:87], v[211:212]
	v_fma_f64 v[227:228], v[187:188], s[22:23], v[221:222]
	v_add_f64 v[100:101], v[100:101], v[102:103]
	v_mul_f64 v[102:103], v[191:192], s[28:29]
	v_fma_f64 v[225:226], v[193:194], s[16:17], v[219:220]
	buffer_store_dword v88, off, s[48:51], 0 offset:128 ; 4-byte Folded Spill
	s_nop 0
	buffer_store_dword v89, off, s[48:51], 0 offset:132 ; 4-byte Folded Spill
	v_mul_f64 v[88:89], v[193:194], s[22:23]
	v_add_f64 v[245:246], v[84:85], v[245:246]
	buffer_store_dword v88, off, s[48:51], 0 offset:16 ; 4-byte Folded Spill
	s_nop 0
	buffer_store_dword v89, off, s[48:51], 0 offset:20 ; 4-byte Folded Spill
	v_mul_f64 v[88:89], v[189:190], s[22:23]
	v_add_f64 v[227:228], v[227:228], v[245:246]
	;; [unrolled: 5-line block ×3, first 2 shown]
	buffer_store_dword v88, off, s[48:51], 0 offset:96 ; 4-byte Folded Spill
	s_nop 0
	buffer_store_dword v89, off, s[48:51], 0 offset:100 ; 4-byte Folded Spill
	v_mul_f64 v[88:89], v[189:190], s[28:29]
	v_mul_f64 v[189:190], v[189:190], s[18:19]
	buffer_store_dword v88, off, s[48:51], 0 offset:136 ; 4-byte Folded Spill
	s_nop 0
	buffer_store_dword v89, off, s[48:51], 0 offset:140 ; 4-byte Folded Spill
	v_mul_f64 v[88:89], v[199:200], s[24:25]
	buffer_store_dword v88, off, s[48:51], 0 offset:32 ; 4-byte Folded Spill
	s_nop 0
	buffer_store_dword v89, off, s[48:51], 0 offset:36 ; 4-byte Folded Spill
	;; [unrolled: 4-line block ×4, first 2 shown]
	v_mul_f64 v[88:89], v[191:192], s[22:23]
	v_mul_f64 v[191:192], v[191:192], s[16:17]
	buffer_store_dword v88, off, s[48:51], 0 offset:144 ; 4-byte Folded Spill
	s_nop 0
	buffer_store_dword v89, off, s[48:51], 0 offset:148 ; 4-byte Folded Spill
	v_mul_f64 v[88:89], v[207:208], s[28:29]
	buffer_store_dword v88, off, s[48:51], 0 offset:48 ; 4-byte Folded Spill
	s_nop 0
	buffer_store_dword v89, off, s[48:51], 0 offset:52 ; 4-byte Folded Spill
	;; [unrolled: 4-line block ×5, first 2 shown]
	v_fma_f64 v[88:89], v[239:240], s[38:39], v[92:93]
	v_fma_f64 v[92:93], v[239:240], s[26:27], v[92:93]
	v_add_f64 v[90:91], v[88:89], v[90:91]
	v_fma_f64 v[88:89], v[207:208], s[22:23], v[98:99]
	v_add_f64 v[94:95], v[92:93], v[94:95]
	v_fma_f64 v[92:93], v[207:208], s[22:23], -v[98:99]
	v_fma_f64 v[98:99], v[193:194], s[24:25], -v[203:204]
	v_fma_f64 v[203:204], v[235:236], s[44:45], v[148:149]
	v_fma_f64 v[148:149], v[235:236], s[20:21], v[148:149]
	v_add_f64 v[88:89], v[88:89], v[205:206]
	v_mul_f64 v[205:206], v[185:186], s[22:23]
	v_mul_f64 v[185:186], v[185:186], s[28:29]
	v_add_f64 v[98:99], v[98:99], v[100:101]
	v_mul_f64 v[100:101], v[195:196], s[18:19]
	v_fma_f64 v[209:210], v[231:232], s[26:27], v[205:206]
	v_fma_f64 v[205:206], v[231:232], s[38:39], v[205:206]
	v_add_f64 v[96:97], v[96:97], v[98:99]
	v_fma_f64 v[98:99], v[237:238], s[34:35], v[102:103]
	v_fma_f64 v[102:103], v[237:238], s[40:41], v[102:103]
	v_add_f64 v[209:210], v[209:210], v[217:218]
	v_add_f64 v[205:206], v[205:206], v[211:212]
	v_mul_f64 v[211:212], v[106:107], s[22:23]
	v_add_f64 v[92:93], v[92:93], v[96:97]
	v_fma_f64 v[96:97], v[239:240], s[36:37], v[100:101]
	v_fma_f64 v[100:101], v[239:240], s[42:43], v[100:101]
	v_add_f64 v[203:204], v[203:204], v[209:210]
	v_mul_f64 v[209:210], v[253:254], s[40:41]
	v_add_f64 v[148:149], v[148:149], v[205:206]
	v_fma_f64 v[205:206], v[187:188], s[22:23], -v[221:222]
	v_fma_f64 v[106:107], v[223:224], s[38:39], v[211:212]
	v_add_f64 v[98:99], v[98:99], v[203:204]
	v_fma_f64 v[217:218], v[199:200], s[28:29], v[209:210]
	v_add_f64 v[102:103], v[102:103], v[148:149]
	v_fma_f64 v[148:149], v[199:200], s[28:29], -v[209:210]
	v_fma_f64 v[209:210], v[183:184], s[24:25], -v[241:242]
	v_mul_f64 v[203:204], v[181:182], s[42:43]
	v_add_f64 v[106:107], v[86:87], v[106:107]
	v_mul_f64 v[181:182], v[181:182], s[30:31]
	v_add_f64 v[98:99], v[96:97], v[98:99]
	v_add_f64 v[217:218], v[217:218], v[225:226]
	;; [unrolled: 1-line block ×3, first 2 shown]
	v_mul_f64 v[225:226], v[104:105], s[26:27]
	v_add_f64 v[209:210], v[84:85], v[209:210]
	v_fma_f64 v[96:97], v[207:208], s[18:19], v[203:204]
	v_fma_f64 v[100:101], v[207:208], s[18:19], -v[203:204]
	v_fma_f64 v[203:204], v[193:194], s[16:17], -v[219:220]
	v_mul_f64 v[219:220], v[249:250], s[34:35]
	v_fma_f64 v[104:105], v[183:184], s[22:23], v[225:226]
	v_add_f64 v[205:206], v[205:206], v[209:210]
	v_fma_f64 v[209:210], v[231:232], s[40:41], v[185:186]
	v_add_f64 v[96:97], v[96:97], v[217:218]
	v_fma_f64 v[185:186], v[231:232], s[34:35], v[185:186]
	v_fma_f64 v[221:222], v[187:188], s[28:29], v[219:220]
	v_fma_f64 v[183:184], v[183:184], s[22:23], -v[225:226]
	v_fma_f64 v[187:188], v[187:188], s[28:29], -v[219:220]
	v_add_f64 v[104:105], v[84:85], v[104:105]
	v_add_f64 v[203:204], v[203:204], v[205:206]
	v_fma_f64 v[205:206], v[235:236], s[36:37], v[189:190]
	v_add_f64 v[106:107], v[209:210], v[106:107]
	v_mul_f64 v[209:210], v[251:252], s[42:43]
	v_fma_f64 v[189:190], v[235:236], s[42:43], v[189:190]
	v_add_f64 v[183:184], v[84:85], v[183:184]
	v_add_f64 v[104:105], v[221:222], v[104:105]
	;; [unrolled: 1-line block ×3, first 2 shown]
	v_fma_f64 v[203:204], v[237:238], s[44:45], v[191:192]
	v_add_f64 v[106:107], v[205:206], v[106:107]
	v_fma_f64 v[217:218], v[193:194], s[18:19], v[209:210]
	v_fma_f64 v[191:192], v[237:238], s[20:21], v[191:192]
	v_add_f64 v[183:184], v[187:188], v[183:184]
	v_add_f64 v[100:101], v[100:101], v[148:149]
	v_mul_f64 v[148:149], v[195:196], s[24:25]
	v_add_f64 v[106:107], v[203:204], v[106:107]
	v_mul_f64 v[203:204], v[253:254], s[20:21]
	v_add_f64 v[104:105], v[217:218], v[104:105]
	v_fma_f64 v[195:196], v[239:240], s[46:47], v[148:149]
	v_fma_f64 v[148:149], v[239:240], s[30:31], v[148:149]
	v_fma_f64 v[205:206], v[199:200], s[16:17], v[203:204]
	v_add_f64 v[106:107], v[195:196], v[106:107]
	v_fma_f64 v[195:196], v[207:208], s[24:25], v[181:182]
	v_add_f64 v[104:105], v[205:206], v[104:105]
	v_add_f64 v[104:105], v[195:196], v[104:105]
	v_fma_f64 v[195:196], v[223:224], s[26:27], v[211:212]
	v_add_f64 v[195:196], v[86:87], v[195:196]
	v_add_f64 v[185:186], v[185:186], v[195:196]
	;; [unrolled: 1-line block ×3, first 2 shown]
	v_fma_f64 v[189:190], v[193:194], s[18:19], -v[209:210]
	v_add_f64 v[185:186], v[191:192], v[185:186]
	v_add_f64 v[183:184], v[189:190], v[183:184]
	;; [unrolled: 1-line block ×3, first 2 shown]
	v_fma_f64 v[148:149], v[207:208], s[24:25], -v[181:182]
	v_fma_f64 v[181:182], v[199:200], s[16:17], -v[203:204]
	v_add_f64 v[181:182], v[181:182], v[183:184]
	v_add_f64 v[183:184], v[148:149], v[181:182]
	buffer_load_dword v148, off, s[48:51], 0 offset:152 ; 4-byte Folded Reload
	buffer_load_dword v149, off, s[48:51], 0 offset:156 ; 4-byte Folded Reload
	;; [unrolled: 1-line block ×10, first 2 shown]
	s_waitcnt vmcnt(8)
	v_add_f64 v[148:149], v[233:234], v[148:149]
	s_waitcnt vmcnt(6)
	v_add_f64 v[181:182], v[229:230], v[181:182]
	;; [unrolled: 2-line block ×5, first 2 shown]
	v_add_f64 v[175:176], v[86:87], v[175:176]
	v_add_f64 v[175:176], v[189:190], v[175:176]
	;; [unrolled: 1-line block ×5, first 2 shown]
	buffer_load_dword v148, off, s[48:51], 0 offset:120 ; 4-byte Folded Reload
	buffer_load_dword v149, off, s[48:51], 0 offset:124 ; 4-byte Folded Reload
	s_waitcnt vmcnt(0)
	v_add_f64 v[148:149], v[148:149], -v[179:180]
	buffer_load_dword v179, off, s[48:51], 0 offset:112 ; 4-byte Folded Reload
	buffer_load_dword v180, off, s[48:51], 0 offset:116 ; 4-byte Folded Reload
	s_waitcnt vmcnt(0)
	v_add_f64 v[177:178], v[179:180], -v[177:178]
	;; [unrolled: 4-line block ×5, first 2 shown]
	v_add_f64 v[169:170], v[84:85], v[169:170]
	v_add_f64 v[169:170], v[171:172], v[169:170]
	;; [unrolled: 1-line block ×5, first 2 shown]
	buffer_load_dword v148, off, s[48:51], 0 offset:88 ; 4-byte Folded Reload
	buffer_load_dword v149, off, s[48:51], 0 offset:92 ; 4-byte Folded Reload
	s_waitcnt vmcnt(0)
	v_add_f64 v[148:149], v[167:168], v[148:149]
	buffer_load_dword v167, off, s[48:51], 0 offset:72 ; 4-byte Folded Reload
	buffer_load_dword v168, off, s[48:51], 0 offset:76 ; 4-byte Folded Reload
	s_waitcnt vmcnt(0)
	v_add_f64 v[165:166], v[165:166], v[167:168]
	;; [unrolled: 4-line block ×5, first 2 shown]
	v_add_f64 v[156:157], v[86:87], v[156:157]
	v_add_f64 v[86:87], v[86:87], v[134:135]
	v_add_f64 v[156:157], v[161:162], v[156:157]
	v_add_f64 v[86:87], v[86:87], v[136:137]
	v_add_f64 v[156:157], v[163:164], v[156:157]
	v_add_f64 v[86:87], v[86:87], v[138:139]
	v_add_f64 v[156:157], v[165:166], v[156:157]
	v_add_f64 v[86:87], v[86:87], v[140:141]
	v_add_f64 v[156:157], v[148:149], v[156:157]
	buffer_load_dword v148, off, s[48:51], 0 offset:48 ; 4-byte Folded Reload
	buffer_load_dword v149, off, s[48:51], 0 offset:52 ; 4-byte Folded Reload
	v_add_f64 v[86:87], v[86:87], v[142:143]
	v_add_f64 v[86:87], v[86:87], v[146:147]
	;; [unrolled: 1-line block ×6, first 2 shown]
	s_waitcnt vmcnt(0)
	v_add_f64 v[148:149], v[148:149], -v[158:159]
	buffer_load_dword v158, off, s[48:51], 0 offset:32 ; 4-byte Folded Reload
	buffer_load_dword v159, off, s[48:51], 0 offset:36 ; 4-byte Folded Reload
	s_waitcnt vmcnt(0)
	v_add_f64 v[154:155], v[158:159], -v[154:155]
	buffer_load_dword v158, off, s[48:51], 0 offset:16 ; 4-byte Folded Reload
	buffer_load_dword v159, off, s[48:51], 0 offset:20 ; 4-byte Folded Reload
	;; [unrolled: 4-line block ×3, first 2 shown]
	s_waitcnt vmcnt(0)
	v_add_f64 v[150:151], v[158:159], -v[150:151]
	buffer_load_dword v158, off, s[48:51], 0 ; 4-byte Folded Reload
	buffer_load_dword v159, off, s[48:51], 0 offset:4 ; 4-byte Folded Reload
	s_waitcnt vmcnt(0)
	v_add_f64 v[158:159], v[158:159], -v[243:244]
	v_add_f64 v[158:159], v[84:85], v[158:159]
	v_add_f64 v[84:85], v[84:85], v[128:129]
	;; [unrolled: 1-line block ×12, first 2 shown]
	v_mul_u32_u24_e32 v108, 0x63, v198
	v_add_u32_sdwa v108, v108, v248 dst_sel:DWORD dst_unused:UNUSED_PAD src0_sel:DWORD src1_sel:BYTE_0
	v_lshl_add_u32 v108, v108, 4, v247
	v_add_f64 v[84:85], v[84:85], v[114:115]
	v_add_f64 v[84:85], v[84:85], v[112:113]
	;; [unrolled: 1-line block ×3, first 2 shown]
	ds_write_b128 v108, v[84:87]
	ds_write_b128 v108, v[154:157] offset:144
	ds_write_b128 v108, v[173:176] offset:288
	;; [unrolled: 1-line block ×10, first 2 shown]
.LBB0_5:
	s_or_b64 exec, exec, s[6:7]
	v_add_co_u32_e32 v112, vcc, 0xc6, v255
	s_mov_b32 s6, 0xa57f
	v_mul_u32_u24_sdwa v92, v112, s6 dst_sel:DWORD dst_unused:UNUSED_PAD src0_sel:WORD_0 src1_sel:DWORD
	v_lshlrev_b32_e32 v108, 5, v255
	v_lshrrev_b32_e32 v92, 22, v92
	s_waitcnt lgkmcnt(0)
	s_barrier
	global_load_dwordx4 v[84:87], v108, s[14:15] offset:1456
	global_load_dwordx4 v[88:91], v108, s[14:15] offset:1440
	v_mul_lo_u16_e32 v92, 0x63, v92
	v_sub_u16_e32 v111, v112, v92
	v_lshlrev_b16_e32 v92, 5, v111
	v_mov_b32_e32 v159, s15
	v_add_co_u32_e32 v100, vcc, s14, v92
	v_addc_co_u32_e32 v101, vcc, 0, v159, vcc
	global_load_dwordx4 v[96:99], v[100:101], off offset:1440
	global_load_dwordx4 v[92:95], v[100:101], off offset:1456
	ds_read_b128 v[100:103], v197
	ds_read_b128 v[104:107], v197 offset:1584
	ds_read_b128 v[113:116], v197 offset:9504
	;; [unrolled: 1-line block ×8, first 2 shown]
	s_mov_b32 s6, 0xe8584caa
	s_mov_b32 s7, 0x3febb67a
	;; [unrolled: 1-line block ×4, first 2 shown]
	v_add_co_u32_e32 v170, vcc, s14, v108
	s_movk_i32 s12, 0x1200
	v_addc_co_u32_e32 v171, vcc, 0, v159, vcc
	v_add_co_u32_e32 v109, vcc, s12, v170
	s_waitcnt vmcnt(0) lgkmcnt(0)
	s_barrier
	s_movk_i32 s15, 0x1000
	v_addc_co_u32_e32 v110, vcc, 0, v171, vcc
	v_lshl_add_u32 v161, v111, 4, v247
	v_add_u32_e32 v108, 0xc60, v108
	v_lshlrev_b32_e32 v112, 5, v112
	s_mov_b32 s18, 0xa2cf5039
	s_mov_b32 s19, 0x3fe8836f
	;; [unrolled: 1-line block ×6, first 2 shown]
	v_mul_f64 v[145:146], v[115:116], v[86:87]
	v_mul_f64 v[141:142], v[123:124], v[90:91]
	;; [unrolled: 1-line block ×8, first 2 shown]
	v_fma_f64 v[113:114], v[113:114], v[84:85], -v[145:146]
	v_mul_f64 v[157:158], v[135:136], v[98:99]
	v_mul_f64 v[162:163], v[133:134], v[98:99]
	;; [unrolled: 1-line block ×4, first 2 shown]
	v_fma_f64 v[121:122], v[121:122], v[88:89], -v[141:142]
	v_fma_f64 v[123:124], v[123:124], v[88:89], v[143:144]
	v_fma_f64 v[115:116], v[115:116], v[84:85], v[147:148]
	v_fma_f64 v[129:130], v[129:130], v[88:89], -v[149:150]
	v_fma_f64 v[131:132], v[131:132], v[88:89], v[151:152]
	v_fma_f64 v[117:118], v[117:118], v[84:85], -v[153:154]
	;; [unrolled: 2-line block ×4, first 2 shown]
	v_fma_f64 v[139:140], v[139:140], v[92:93], v[166:167]
	v_add_f64 v[143:144], v[121:122], v[113:114]
	v_add_f64 v[145:146], v[123:124], -v[115:116]
	v_add_f64 v[147:148], v[102:103], v[123:124]
	v_add_f64 v[123:124], v[123:124], v[115:116]
	;; [unrolled: 1-line block ×4, first 2 shown]
	v_add_f64 v[153:154], v[131:132], -v[119:120]
	v_add_f64 v[155:156], v[106:107], v[131:132]
	v_add_f64 v[131:132], v[131:132], v[119:120]
	v_add_f64 v[149:150], v[121:122], -v[113:114]
	v_add_f64 v[121:122], v[104:105], v[129:130]
	v_add_f64 v[157:158], v[129:130], -v[117:118]
	v_add_f64 v[129:130], v[125:126], v[133:134]
	v_add_f64 v[162:163], v[133:134], v[137:138]
	v_add_f64 v[164:165], v[135:136], -v[139:140]
	v_add_f64 v[166:167], v[127:128], v[135:136]
	v_add_f64 v[135:136], v[135:136], v[139:140]
	v_add_f64 v[168:169], v[133:134], -v[137:138]
	v_fma_f64 v[133:134], v[143:144], -0.5, v[100:101]
	v_fma_f64 v[123:124], v[123:124], -0.5, v[102:103]
	v_add_f64 v[113:114], v[141:142], v[113:114]
	v_fma_f64 v[141:142], v[151:152], -0.5, v[104:105]
	v_fma_f64 v[131:132], v[131:132], -0.5, v[106:107]
	v_add_f64 v[115:116], v[147:148], v[115:116]
	v_add_f64 v[104:105], v[129:130], v[137:138]
	v_fma_f64 v[137:138], v[162:163], -0.5, v[125:126]
	v_fma_f64 v[135:136], v[135:136], -0.5, v[127:128]
	v_add_f64 v[100:101], v[121:122], v[117:118]
	v_add_f64 v[102:103], v[155:156], v[119:120]
	v_fma_f64 v[117:118], v[145:146], s[6:7], v[133:134]
	v_fma_f64 v[119:120], v[149:150], s[16:17], v[123:124]
	;; [unrolled: 1-line block ×8, first 2 shown]
	v_add_f64 v[106:107], v[166:167], v[139:140]
	ds_write_b128 v197, v[113:116]
	v_fma_f64 v[113:114], v[164:165], s[6:7], v[137:138]
	v_fma_f64 v[115:116], v[168:169], s[16:17], v[135:136]
	;; [unrolled: 1-line block ×4, first 2 shown]
	ds_write_b128 v197, v[100:103] offset:4752
	ds_write_b128 v197, v[117:120] offset:1584
	;; [unrolled: 1-line block ×8, first 2 shown]
	v_add_co_u32_e32 v100, vcc, s15, v170
	v_addc_co_u32_e32 v101, vcc, 0, v171, vcc
	s_waitcnt lgkmcnt(0)
	s_barrier
	global_load_dwordx4 v[104:107], v[100:101], off offset:512
	s_nop 0
	global_load_dwordx4 v[100:103], v[109:110], off offset:16
	v_add_co_u32_e32 v110, vcc, s14, v108
	v_addc_co_u32_e32 v111, vcc, 0, v159, vcc
	v_add_co_u32_e32 v108, vcc, s12, v110
	v_addc_co_u32_e32 v109, vcc, 0, v111, vcc
	;; [unrolled: 2-line block ×4, first 2 shown]
	v_add_co_u32_e32 v112, vcc, s15, v114
	global_load_dwordx4 v[116:119], v[110:111], off offset:512
	s_nop 0
	global_load_dwordx4 v[108:111], v[108:109], off offset:16
	v_addc_co_u32_e32 v113, vcc, 0, v115, vcc
	global_load_dwordx4 v[120:123], v[112:113], off offset:512
	v_add_co_u32_e32 v112, vcc, s12, v114
	v_addc_co_u32_e32 v113, vcc, 0, v115, vcc
	global_load_dwordx4 v[112:115], v[112:113], off offset:16
	v_mov_b32_e32 v124, s13
	v_addc_co_u32_e64 v189, vcc, 0, v124, s[2:3]
	ds_read_b128 v[124:127], v197
	ds_read_b128 v[128:131], v197 offset:1584
	ds_read_b128 v[132:135], v197 offset:9504
	;; [unrolled: 1-line block ×8, first 2 shown]
	s_movk_i32 s2, 0x37b0
	v_lshl_add_u32 v162, v255, 4, v247
	s_mov_b32 s3, 0x3fe491b7
	s_mov_b32 s14, 0x8c811c17
	;; [unrolled: 1-line block ×5, first 2 shown]
	s_waitcnt vmcnt(5) lgkmcnt(4)
	v_mul_f64 v[163:164], v[142:143], v[106:107]
	v_mul_f64 v[165:166], v[140:141], v[106:107]
	s_waitcnt vmcnt(4)
	v_mul_f64 v[167:168], v[134:135], v[102:103]
	v_mul_f64 v[169:170], v[132:133], v[102:103]
	v_fma_f64 v[140:141], v[140:141], v[104:105], -v[163:164]
	v_fma_f64 v[142:143], v[142:143], v[104:105], v[165:166]
	v_fma_f64 v[132:133], v[132:133], v[100:101], -v[167:168]
	v_fma_f64 v[134:135], v[134:135], v[100:101], v[169:170]
	v_add_f64 v[163:164], v[124:125], v[140:141]
	v_add_f64 v[169:170], v[126:127], v[142:143]
	;; [unrolled: 1-line block ×3, first 2 shown]
	s_waitcnt vmcnt(3) lgkmcnt(2)
	v_mul_f64 v[171:172], v[150:151], v[118:119]
	v_mul_f64 v[173:174], v[148:149], v[118:119]
	s_waitcnt vmcnt(2)
	v_mul_f64 v[175:176], v[138:139], v[110:111]
	v_mul_f64 v[177:178], v[136:137], v[110:111]
	s_waitcnt vmcnt(1) lgkmcnt(1)
	v_mul_f64 v[179:180], v[154:155], v[122:123]
	v_mul_f64 v[181:182], v[152:153], v[122:123]
	v_add_f64 v[167:168], v[142:143], -v[134:135]
	v_add_f64 v[142:143], v[142:143], v[134:135]
	v_fma_f64 v[148:149], v[148:149], v[116:117], -v[171:172]
	s_waitcnt vmcnt(0) lgkmcnt(0)
	v_mul_f64 v[183:184], v[158:159], v[114:115]
	v_mul_f64 v[185:186], v[156:157], v[114:115]
	v_fma_f64 v[150:151], v[150:151], v[116:117], v[173:174]
	v_fma_f64 v[136:137], v[136:137], v[108:109], -v[175:176]
	v_fma_f64 v[138:139], v[138:139], v[108:109], v[177:178]
	v_fma_f64 v[152:153], v[152:153], v[120:121], -v[179:180]
	v_fma_f64 v[154:155], v[154:155], v[120:121], v[181:182]
	v_add_f64 v[171:172], v[140:141], -v[132:133]
	v_fma_f64 v[156:157], v[156:157], v[112:113], -v[183:184]
	v_fma_f64 v[158:159], v[158:159], v[112:113], v[185:186]
	v_add_f64 v[177:178], v[130:131], v[150:151]
	v_add_f64 v[173:174], v[148:149], v[136:137]
	v_add_f64 v[175:176], v[150:151], -v[138:139]
	v_add_f64 v[150:151], v[150:151], v[138:139]
	v_add_f64 v[140:141], v[128:129], v[148:149]
	v_add_f64 v[179:180], v[148:149], -v[136:137]
	;; [unrolled: 3-line block ×4, first 2 shown]
	v_fma_f64 v[152:153], v[165:166], -0.5, v[124:125]
	v_fma_f64 v[142:143], v[142:143], -0.5, v[126:127]
	v_add_f64 v[132:133], v[163:164], v[132:133]
	v_fma_f64 v[163:164], v[173:174], -0.5, v[128:129]
	v_fma_f64 v[150:151], v[150:151], -0.5, v[130:131]
	v_add_f64 v[128:129], v[148:149], v[156:157]
	v_fma_f64 v[156:157], v[181:182], -0.5, v[144:145]
	v_add_f64 v[130:131], v[185:186], v[158:159]
	;; [unrolled: 2-line block ×3, first 2 shown]
	v_add_f64 v[124:125], v[140:141], v[136:137]
	v_add_f64 v[126:127], v[177:178], v[138:139]
	v_fma_f64 v[136:137], v[167:168], s[6:7], v[152:153]
	v_fma_f64 v[138:139], v[171:172], s[16:17], v[142:143]
	;; [unrolled: 1-line block ×12, first 2 shown]
	ds_write_b128 v197, v[132:135]
	ds_write_b128 v197, v[124:127] offset:1584
	ds_write_b128 v197, v[136:139] offset:4752
	;; [unrolled: 1-line block ×8, first 2 shown]
	v_add_co_u32_e32 v128, vcc, s2, v201
	v_addc_co_u32_e32 v129, vcc, 0, v189, vcc
	s_movk_i32 s2, 0x3000
	v_add_co_u32_e32 v132, vcc, s2, v201
	v_addc_co_u32_e32 v133, vcc, 0, v189, vcc
	s_movk_i32 s2, 0x4000
	v_add_co_u32_e32 v136, vcc, s2, v201
	v_addc_co_u32_e32 v137, vcc, 0, v189, vcc
	s_waitcnt lgkmcnt(0)
	s_barrier
	global_load_dwordx4 v[124:127], v[128:129], off offset:1584
	s_nop 0
	global_load_dwordx4 v[128:131], v[128:129], off offset:3168
	s_nop 0
	;; [unrolled: 2-line block ×3, first 2 shown]
	global_load_dwordx4 v[136:139], v[136:137], off offset:2624
	s_movk_i32 s2, 0x5000
	v_add_co_u32_e32 v148, vcc, s2, v201
	v_addc_co_u32_e32 v149, vcc, 0, v189, vcc
	s_movk_i32 s2, 0x6000
	global_load_dwordx4 v[140:143], v[148:149], off offset:112
	global_load_dwordx4 v[144:147], v[148:149], off offset:1696
	s_nop 0
	global_load_dwordx4 v[148:151], v[148:149], off offset:3280
	v_add_co_u32_e32 v156, vcc, s2, v201
	v_addc_co_u32_e32 v157, vcc, 0, v189, vcc
	global_load_dwordx4 v[152:155], v[156:157], off offset:768
	s_nop 0
	global_load_dwordx4 v[156:159], v[156:157], off offset:2352
	ds_read_b128 v[163:166], v197
	ds_read_b128 v[167:170], v197 offset:1584
	ds_read_b128 v[171:174], v197 offset:3168
	;; [unrolled: 1-line block ×8, first 2 shown]
	s_mov_b32 s2, 0x523c161c
	s_mov_b32 s6, 0xe8584cab
	;; [unrolled: 1-line block ×3, first 2 shown]
	s_waitcnt vmcnt(8) lgkmcnt(7)
	v_mul_f64 v[199:200], v[169:170], v[126:127]
	s_waitcnt vmcnt(6)
	v_mul_f64 v[195:196], v[165:166], v[134:135]
	v_mul_f64 v[134:135], v[163:164], v[134:135]
	;; [unrolled: 1-line block ×3, first 2 shown]
	s_waitcnt lgkmcnt(6)
	v_mul_f64 v[207:208], v[173:174], v[130:131]
	v_mul_f64 v[209:210], v[171:172], v[130:131]
	s_waitcnt vmcnt(5) lgkmcnt(5)
	v_mul_f64 v[211:212], v[177:178], v[138:139]
	v_mul_f64 v[138:139], v[175:176], v[138:139]
	s_waitcnt vmcnt(4) lgkmcnt(4)
	;; [unrolled: 3-line block ×6, first 2 shown]
	v_mul_f64 v[221:222], v[205:206], v[158:159]
	v_mul_f64 v[158:159], v[203:204], v[158:159]
	v_fma_f64 v[130:131], v[163:164], v[132:133], -v[195:196]
	v_fma_f64 v[132:133], v[165:166], v[132:133], v[134:135]
	v_fma_f64 v[163:164], v[167:168], v[124:125], -v[199:200]
	v_fma_f64 v[165:166], v[169:170], v[124:125], v[126:127]
	;; [unrolled: 2-line block ×9, first 2 shown]
	ds_write_b128 v197, v[130:133]
	ds_write_b128 v197, v[163:166] offset:1584
	ds_write_b128 v197, v[124:127] offset:3168
	;; [unrolled: 1-line block ×8, first 2 shown]
	s_waitcnt lgkmcnt(0)
	s_barrier
	ds_read_b128 v[124:127], v197 offset:1584
	ds_read_b128 v[128:131], v197 offset:12672
	ds_read_b128 v[148:151], v197
	ds_read_b128 v[132:135], v197 offset:11088
	ds_read_b128 v[136:139], v197 offset:3168
	;; [unrolled: 1-line block ×4, first 2 shown]
	s_waitcnt lgkmcnt(5)
	v_add_f64 v[163:164], v[124:125], -v[128:129]
	v_add_f64 v[165:166], v[126:127], -v[130:131]
	v_add_f64 v[124:125], v[124:125], v[128:129]
	s_waitcnt lgkmcnt(2)
	v_add_f64 v[167:168], v[136:137], -v[132:133]
	v_add_f64 v[169:170], v[138:139], -v[134:135]
	v_add_f64 v[126:127], v[126:127], v[130:131]
	s_waitcnt lgkmcnt(0)
	v_add_f64 v[175:176], v[144:145], -v[140:141]
	v_add_f64 v[177:178], v[146:147], -v[142:143]
	v_mul_f64 v[171:172], v[163:164], s[2:3]
	v_mul_f64 v[173:174], v[165:166], s[2:3]
	v_add_f64 v[179:180], v[138:139], v[134:135]
	ds_read_b128 v[152:155], v197 offset:6336
	ds_read_b128 v[156:159], v197 offset:7920
	v_add_f64 v[140:141], v[144:145], v[140:141]
	v_fma_f64 v[134:135], v[126:127], s[18:19], v[150:151]
	v_add_f64 v[142:143], v[146:147], v[142:143]
	s_mov_b32 s3, 0xbfe491b7
	v_fma_f64 v[128:129], v[167:168], s[14:15], v[171:172]
	v_fma_f64 v[171:172], v[169:170], s[14:15], v[173:174]
	v_add_f64 v[173:174], v[136:137], v[132:133]
	v_fma_f64 v[132:133], v[124:125], s[18:19], v[148:149]
	s_waitcnt lgkmcnt(0)
	v_add_f64 v[144:145], v[152:153], -v[156:157]
	v_add_f64 v[146:147], v[154:155], -v[158:159]
	v_add_f64 v[181:182], v[154:155], v[158:159]
	v_fma_f64 v[134:135], v[179:180], s[20:21], v[134:135]
	v_fma_f64 v[128:129], v[175:176], s[6:7], v[128:129]
	;; [unrolled: 1-line block ×3, first 2 shown]
	v_add_f64 v[171:172], v[152:153], v[156:157]
	v_fma_f64 v[132:133], v[173:174], s[20:21], v[132:133]
	v_mul_f64 v[136:137], v[144:145], s[2:3]
	v_mul_f64 v[138:139], v[146:147], s[2:3]
	v_fma_f64 v[185:186], v[181:182], s[18:19], v[150:151]
	v_add_f64 v[191:192], v[144:145], v[163:164]
	v_fma_f64 v[187:188], v[144:145], s[12:13], v[128:129]
	v_fma_f64 v[189:190], v[146:147], s[12:13], v[130:131]
	;; [unrolled: 1-line block ×3, first 2 shown]
	v_fma_f64 v[128:129], v[140:141], -0.5, v[132:133]
	v_fma_f64 v[130:131], v[142:143], -0.5, v[134:135]
	v_fma_f64 v[132:133], v[163:164], s[14:15], v[136:137]
	v_fma_f64 v[134:135], v[165:166], s[14:15], v[138:139]
	;; [unrolled: 1-line block ×3, first 2 shown]
	v_add_f64 v[193:194], v[146:147], v[165:166]
	v_mul_f64 v[144:145], v[144:145], s[14:15]
	v_fma_f64 v[136:137], v[124:125], s[20:21], v[183:184]
	v_fma_f64 v[128:129], v[171:172], s[22:23], v[128:129]
	;; [unrolled: 1-line block ×5, first 2 shown]
	v_fma_f64 v[138:139], v[142:143], -0.5, v[138:139]
	v_mul_f64 v[146:147], v[146:147], s[14:15]
	v_fma_f64 v[144:145], v[167:168], s[2:3], -v[144:145]
	v_fma_f64 v[136:137], v[140:141], -0.5, v[136:137]
	v_add_f64 v[128:129], v[128:129], -v[189:190]
	v_add_f64 v[130:131], v[187:188], v[130:131]
	v_fma_f64 v[183:184], v[167:168], s[12:13], v[132:133]
	v_fma_f64 v[185:186], v[169:170], s[12:13], v[134:135]
	;; [unrolled: 1-line block ×3, first 2 shown]
	v_fma_f64 v[146:147], v[169:170], s[2:3], -v[146:147]
	v_add_f64 v[195:196], v[148:149], v[140:141]
	v_fma_f64 v[132:133], v[173:174], s[22:23], v[136:137]
	v_fma_f64 v[136:137], v[189:190], 2.0, v[128:129]
	v_fma_f64 v[138:139], v[187:188], -2.0, v[130:131]
	v_add_f64 v[187:188], v[191:192], -v[167:168]
	v_add_f64 v[189:190], v[193:194], -v[169:170]
	v_fma_f64 v[191:192], v[173:174], s[18:19], v[148:149]
	v_fma_f64 v[193:194], v[179:180], s[18:19], v[150:151]
	v_add_f64 v[173:174], v[173:174], v[124:125]
	v_add_f64 v[179:180], v[179:180], v[126:127]
	;; [unrolled: 1-line block ×3, first 2 shown]
	v_fma_f64 v[144:145], v[175:176], s[6:7], v[144:145]
	v_fma_f64 v[146:147], v[177:178], s[6:7], v[146:147]
	v_add_f64 v[132:133], v[132:133], -v[185:186]
	v_fma_f64 v[167:168], v[171:172], s[20:21], v[191:192]
	v_fma_f64 v[169:170], v[181:182], s[20:21], v[193:194]
	v_add_f64 v[171:172], v[171:172], v[173:174]
	v_add_f64 v[181:182], v[181:182], v[179:180]
	;; [unrolled: 1-line block ×4, first 2 shown]
	v_fma_f64 v[163:164], v[163:164], s[12:13], v[144:145]
	v_fma_f64 v[165:166], v[165:166], s[12:13], v[146:147]
	v_fma_f64 v[140:141], v[140:141], -0.5, v[167:168]
	v_fma_f64 v[142:143], v[142:143], -0.5, v[169:170]
	;; [unrolled: 1-line block ×4, first 2 shown]
	v_add_f64 v[152:153], v[152:153], v[173:174]
	v_add_f64 v[154:155], v[154:155], v[179:180]
	;; [unrolled: 1-line block ×3, first 2 shown]
	v_mul_f64 v[171:172], v[187:188], s[6:7]
	v_fma_f64 v[124:125], v[124:125], s[22:23], v[140:141]
	v_fma_f64 v[126:127], v[126:127], s[22:23], v[142:143]
	v_mul_f64 v[173:174], v[189:190], s[6:7]
	v_fma_f64 v[140:141], v[189:190], s[16:17], v[167:168]
	v_add_f64 v[152:153], v[156:157], v[152:153]
	v_add_f64 v[154:155], v[158:159], v[154:155]
	v_fma_f64 v[142:143], v[187:188], s[6:7], v[169:170]
	v_fma_f64 v[156:157], v[185:186], 2.0, v[132:133]
	v_add_f64 v[144:145], v[124:125], -v[165:166]
	v_add_f64 v[146:147], v[163:164], v[126:127]
	v_fma_f64 v[158:159], v[183:184], -2.0, v[134:135]
	v_add_f64 v[124:125], v[148:149], v[152:153]
	v_add_f64 v[126:127], v[150:151], v[154:155]
	v_fma_f64 v[152:153], v[173:174], 2.0, v[140:141]
	v_fma_f64 v[154:155], v[171:172], -2.0, v[142:143]
	v_fma_f64 v[148:149], v[165:166], 2.0, v[144:145]
	v_fma_f64 v[150:151], v[163:164], -2.0, v[146:147]
	s_barrier
	ds_write_b128 v202, v[124:127]
	ds_write_b128 v202, v[128:131] offset:16
	ds_write_b128 v202, v[132:135] offset:32
	;; [unrolled: 1-line block ×8, first 2 shown]
	s_waitcnt lgkmcnt(0)
	s_barrier
	s_and_saveexec_b64 s[2:3], s[0:1]
	s_cbranch_execz .LBB0_7
; %bb.6:
	ds_read_b128 v[124:127], v197
	ds_read_b128 v[128:131], v197 offset:1296
	ds_read_b128 v[132:135], v197 offset:2592
	;; [unrolled: 1-line block ×10, first 2 shown]
.LBB0_7:
	s_or_b64 exec, exec, s[2:3]
	v_add_u32_e32 v163, 0xc60, v197
	s_waitcnt lgkmcnt(0)
	s_barrier
	s_and_saveexec_b64 s[2:3], s[0:1]
	s_cbranch_execz .LBB0_9
; %bb.8:
	v_mul_f64 v[164:165], v[66:67], v[150:151]
	v_mul_f64 v[166:167], v[62:63], v[154:155]
	;; [unrolled: 1-line block ×7, first 2 shown]
	s_mov_b32 s20, 0xfd768dbf
	v_fma_f64 v[62:63], v[64:65], v[148:149], v[164:165]
	v_fma_f64 v[50:51], v[60:61], v[152:153], v[166:167]
	v_mul_f64 v[152:153], v[74:75], v[156:157]
	v_mul_f64 v[164:165], v[46:47], v[142:143]
	;; [unrolled: 1-line block ×3, first 2 shown]
	v_fma_f64 v[148:149], v[64:65], v[150:151], -v[66:67]
	v_fma_f64 v[64:65], v[72:73], v[156:157], v[172:173]
	v_mul_f64 v[156:157], v[70:71], v[136:137]
	v_fma_f64 v[74:75], v[60:61], v[154:155], -v[168:169]
	v_fma_f64 v[144:145], v[48:49], v[144:145], v[170:171]
	v_fma_f64 v[66:67], v[72:73], v[158:159], -v[152:153]
	v_fma_f64 v[72:73], v[44:45], v[140:141], v[164:165]
	v_mul_f64 v[140:141], v[46:47], v[140:141]
	v_fma_f64 v[60:61], v[68:69], v[136:137], v[166:167]
	v_mul_f64 v[164:165], v[42:43], v[130:131]
	v_mul_f64 v[166:167], v[54:55], v[82:83]
	;; [unrolled: 1-line block ×3, first 2 shown]
	s_mov_b32 s21, 0xbfd207e7
	s_mov_b32 s26, 0xf8bb580b
	s_mov_b32 s18, 0x9bcd5057
	v_fma_f64 v[70:71], v[44:45], v[142:143], -v[140:141]
	v_fma_f64 v[44:45], v[68:69], v[138:139], -v[156:157]
	v_mul_f64 v[68:69], v[38:39], v[134:135]
	v_mul_f64 v[142:143], v[58:59], v[78:79]
	;; [unrolled: 1-line block ×3, first 2 shown]
	s_mov_b32 s27, 0x3fe14ced
	s_mov_b32 s19, 0xbfeeb42a
	v_fma_f64 v[146:147], v[48:49], v[146:147], -v[174:175]
	v_add_f64 v[136:137], v[72:73], -v[60:61]
	v_add_f64 v[180:181], v[70:71], -v[44:45]
	v_fma_f64 v[140:141], v[36:37], v[132:133], v[68:69]
	v_fma_f64 v[68:69], v[56:57], v[76:77], v[142:143]
	v_mul_f64 v[142:143], v[42:43], v[128:129]
	v_mul_f64 v[132:133], v[38:39], v[132:133]
	v_fma_f64 v[42:43], v[40:41], v[128:129], v[164:165]
	v_fma_f64 v[38:39], v[52:53], v[80:81], v[166:167]
	s_mov_b32 s14, 0xbb3a28a1
	s_mov_b32 s22, 0x8764f0ba
	;; [unrolled: 1-line block ×3, first 2 shown]
	v_add_f64 v[164:165], v[140:141], -v[68:69]
	v_fma_f64 v[142:143], v[40:41], v[130:131], -v[142:143]
	v_fma_f64 v[40:41], v[52:53], v[82:83], -v[54:55]
	v_fma_f64 v[168:169], v[36:37], v[134:135], -v[132:133]
	v_add_f64 v[166:167], v[42:43], -v[38:39]
	v_fma_f64 v[36:37], v[56:57], v[78:79], -v[58:59]
	v_add_f64 v[178:179], v[42:43], v[38:39]
	v_add_f64 v[182:183], v[140:141], v[68:69]
	v_mul_f64 v[56:57], v[164:165], s[26:27]
	s_mov_b32 s23, 0x3feaeb8c
	v_add_f64 v[170:171], v[142:143], -v[40:41]
	v_add_f64 v[172:173], v[142:143], v[40:41]
	v_mul_f64 v[54:55], v[166:167], s[20:21]
	v_add_f64 v[176:177], v[168:169], -v[36:37]
	v_add_f64 v[174:175], v[168:169], v[36:37]
	v_add_f64 v[152:153], v[144:145], -v[64:65]
	v_mul_f64 v[156:157], v[136:137], s[14:15]
	v_add_f64 v[138:139], v[70:71], v[44:45]
	v_mul_f64 v[58:59], v[170:171], s[20:21]
	v_add_f64 v[184:185], v[146:147], -v[66:67]
	v_fma_f64 v[76:77], v[172:173], s[18:19], v[54:55]
	v_mul_f64 v[78:79], v[176:177], s[26:27]
	v_fma_f64 v[54:55], v[172:173], s[18:19], -v[54:55]
	v_fma_f64 v[82:83], v[174:175], s[22:23], v[56:57]
	v_add_f64 v[186:187], v[72:73], v[60:61]
	v_mul_f64 v[128:129], v[180:181], s[14:15]
	v_fma_f64 v[80:81], v[178:179], s[18:19], -v[58:59]
	v_fma_f64 v[56:57], v[174:175], s[22:23], -v[56:57]
	v_add_f64 v[76:77], v[126:127], v[76:77]
	v_fma_f64 v[130:131], v[182:183], s[22:23], -v[78:79]
	v_add_f64 v[54:55], v[126:127], v[54:55]
	s_mov_b32 s16, 0x7f775887
	s_mov_b32 s7, 0x3fed1bb4
	;; [unrolled: 1-line block ×3, first 2 shown]
	v_add_f64 v[80:81], v[124:125], v[80:81]
	s_mov_b32 s17, 0xbfe4f49e
	v_add_f64 v[150:151], v[62:63], -v[50:51]
	v_mul_f64 v[158:159], v[152:153], s[6:7]
	v_add_f64 v[46:47], v[146:147], v[66:67]
	v_add_f64 v[76:77], v[82:83], v[76:77]
	;; [unrolled: 1-line block ×3, first 2 shown]
	v_mul_f64 v[82:83], v[184:185], s[6:7]
	v_fma_f64 v[132:133], v[186:187], s[16:17], -v[128:129]
	v_add_f64 v[80:81], v[130:131], v[80:81]
	v_fma_f64 v[130:131], v[138:139], s[16:17], -v[156:157]
	v_add_f64 v[54:55], v[56:57], v[54:55]
	s_mov_b32 s0, 0x43842ef
	s_mov_b32 s12, 0xd9c712b6
	;; [unrolled: 1-line block ×4, first 2 shown]
	v_mul_f64 v[154:155], v[150:151], s[0:1]
	v_add_f64 v[48:49], v[148:149], v[74:75]
	v_fma_f64 v[134:135], v[190:191], s[12:13], -v[82:83]
	v_add_f64 v[80:81], v[132:133], v[80:81]
	v_fma_f64 v[132:133], v[46:47], s[12:13], -v[158:159]
	v_add_f64 v[54:55], v[130:131], v[54:55]
	v_fma_f64 v[58:59], v[178:179], s[18:19], v[58:59]
	s_mov_b32 s24, 0x640f44db
	s_mov_b32 s25, 0xbfc2375f
	v_fma_f64 v[130:131], v[48:49], s[24:25], v[154:155]
	v_fma_f64 v[78:79], v[182:183], s[22:23], v[78:79]
	v_add_f64 v[80:81], v[134:135], v[80:81]
	v_fma_f64 v[134:135], v[48:49], s[24:25], -v[154:155]
	v_add_f64 v[132:133], v[132:133], v[54:55]
	v_mul_f64 v[54:55], v[166:167], s[14:15]
	v_mul_f64 v[154:155], v[170:171], s[14:15]
	v_add_f64 v[58:59], v[124:125], v[58:59]
	s_mov_b32 s31, 0x3fefac9e
	s_mov_b32 s30, s0
	v_fma_f64 v[52:53], v[138:139], s[16:17], v[156:157]
	v_fma_f64 v[56:57], v[46:47], s[12:13], v[158:159]
	v_fma_f64 v[128:129], v[186:187], s[16:17], v[128:129]
	v_mul_f64 v[156:157], v[164:165], s[30:31]
	v_fma_f64 v[158:159], v[172:173], s[16:17], v[54:55]
	v_mul_f64 v[194:195], v[176:177], s[30:31]
	v_fma_f64 v[199:200], v[178:179], s[16:17], -v[154:155]
	v_add_f64 v[58:59], v[78:79], v[58:59]
	s_mov_b32 s29, 0xbfe14ced
	s_mov_b32 s28, s26
	v_add_f64 v[188:189], v[148:149], -v[74:75]
	v_add_f64 v[52:53], v[52:53], v[76:77]
	v_mul_f64 v[201:202], v[136:137], s[28:29]
	v_fma_f64 v[203:204], v[174:175], s[24:25], v[156:157]
	v_add_f64 v[158:159], v[126:127], v[158:159]
	v_mul_f64 v[205:206], v[180:181], s[28:29]
	v_fma_f64 v[207:208], v[182:183], s[24:25], -v[194:195]
	v_add_f64 v[199:200], v[124:125], v[199:200]
	v_fma_f64 v[78:79], v[190:191], s[12:13], v[82:83]
	v_add_f64 v[58:59], v[128:129], v[58:59]
	v_fma_f64 v[54:55], v[172:173], s[16:17], -v[54:55]
	v_add_f64 v[192:193], v[62:63], v[50:51]
	v_mul_f64 v[76:77], v[188:189], s[0:1]
	v_add_f64 v[52:53], v[56:57], v[52:53]
	v_mul_f64 v[82:83], v[152:153], s[20:21]
	v_fma_f64 v[209:210], v[138:139], s[22:23], v[201:202]
	v_add_f64 v[158:159], v[203:204], v[158:159]
	v_mul_f64 v[203:204], v[184:185], s[20:21]
	v_fma_f64 v[211:212], v[186:187], s[22:23], -v[205:206]
	v_add_f64 v[199:200], v[207:208], v[199:200]
	v_add_f64 v[78:79], v[78:79], v[58:59]
	v_fma_f64 v[58:59], v[174:175], s[24:25], -v[156:157]
	v_add_f64 v[156:157], v[126:127], v[54:55]
	v_fma_f64 v[56:57], v[192:193], s[24:25], -v[76:77]
	v_mul_f64 v[128:129], v[150:151], s[6:7]
	v_fma_f64 v[207:208], v[46:47], s[18:19], v[82:83]
	v_add_f64 v[158:159], v[209:210], v[158:159]
	v_mul_f64 v[209:210], v[188:189], s[6:7]
	v_fma_f64 v[213:214], v[190:191], s[18:19], -v[203:204]
	v_add_f64 v[199:200], v[211:212], v[199:200]
	v_add_f64 v[54:55], v[130:131], v[52:53]
	;; [unrolled: 1-line block ×4, first 2 shown]
	v_mul_f64 v[132:133], v[166:167], s[0:1]
	s_mov_b32 s35, 0x3fd207e7
	s_mov_b32 s34, s20
	v_fma_f64 v[76:77], v[192:193], s[24:25], v[76:77]
	v_fma_f64 v[211:212], v[48:49], s[12:13], v[128:129]
	v_add_f64 v[158:159], v[207:208], v[158:159]
	v_fma_f64 v[207:208], v[192:193], s[12:13], -v[209:210]
	v_add_f64 v[199:200], v[213:214], v[199:200]
	v_add_f64 v[52:53], v[56:57], v[80:81]
	v_fma_f64 v[80:81], v[138:139], s[22:23], -v[201:202]
	v_fma_f64 v[134:135], v[178:179], s[16:17], v[154:155]
	v_mul_f64 v[154:155], v[164:165], s[34:35]
	v_fma_f64 v[156:157], v[172:173], s[24:25], v[132:133]
	v_add_f64 v[56:57], v[76:77], v[78:79]
	v_add_f64 v[78:79], v[211:212], v[158:159]
	;; [unrolled: 1-line block ×3, first 2 shown]
	v_fma_f64 v[82:83], v[46:47], s[18:19], -v[82:83]
	v_add_f64 v[80:81], v[80:81], v[130:131]
	v_fma_f64 v[130:131], v[182:183], s[24:25], v[194:195]
	v_add_f64 v[134:135], v[124:125], v[134:135]
	v_mul_f64 v[158:159], v[136:137], s[6:7]
	v_mul_f64 v[194:195], v[170:171], s[0:1]
	v_fma_f64 v[199:200], v[174:175], s[18:19], v[154:155]
	v_add_f64 v[156:157], v[126:127], v[156:157]
	v_fma_f64 v[201:202], v[190:191], s[18:19], v[203:204]
	v_add_f64 v[80:81], v[82:83], v[80:81]
	;; [unrolled: 2-line block ×3, first 2 shown]
	v_fma_f64 v[134:135], v[192:193], s[12:13], v[209:210]
	v_mul_f64 v[203:204], v[152:153], s[28:29]
	v_mul_f64 v[205:206], v[176:177], s[34:35]
	v_fma_f64 v[207:208], v[178:179], s[24:25], -v[194:195]
	v_fma_f64 v[209:210], v[138:139], s[12:13], v[158:159]
	v_add_f64 v[156:157], v[199:200], v[156:157]
	v_mul_f64 v[199:200], v[150:151], s[14:15]
	v_add_f64 v[82:83], v[82:83], v[130:131]
	v_fma_f64 v[130:131], v[172:173], s[24:25], -v[132:133]
	v_fma_f64 v[213:214], v[46:47], s[22:23], v[203:204]
	v_fma_f64 v[132:133], v[182:183], s[18:19], -v[205:206]
	v_add_f64 v[207:208], v[124:125], v[207:208]
	v_mul_f64 v[211:212], v[180:181], s[6:7]
	v_add_f64 v[156:157], v[209:210], v[156:157]
	v_fma_f64 v[154:155], v[174:175], s[18:19], -v[154:155]
	s_mov_b32 s7, 0xbfed1bb4
	v_add_f64 v[130:131], v[126:127], v[130:131]
	v_fma_f64 v[128:129], v[48:49], s[12:13], -v[128:129]
	v_add_f64 v[201:202], v[201:202], v[82:83]
	v_add_f64 v[132:133], v[132:133], v[207:208]
	v_fma_f64 v[207:208], v[48:49], s[16:17], v[199:200]
	v_add_f64 v[156:157], v[213:214], v[156:157]
	v_mul_f64 v[209:210], v[184:185], s[28:29]
	v_fma_f64 v[215:216], v[186:187], s[12:13], -v[211:212]
	v_fma_f64 v[158:159], v[138:139], s[12:13], -v[158:159]
	v_add_f64 v[154:155], v[154:155], v[130:131]
	v_add_f64 v[82:83], v[128:129], v[80:81]
	;; [unrolled: 1-line block ×3, first 2 shown]
	v_fma_f64 v[134:135], v[46:47], s[22:23], -v[203:204]
	v_add_f64 v[130:131], v[207:208], v[156:157]
	v_mul_f64 v[156:157], v[166:167], s[6:7]
	v_fma_f64 v[213:214], v[190:191], s[22:23], -v[209:210]
	v_add_f64 v[132:133], v[215:216], v[132:133]
	v_add_f64 v[154:155], v[158:159], v[154:155]
	v_mul_f64 v[201:202], v[170:171], s[6:7]
	v_fma_f64 v[194:195], v[178:179], s[24:25], v[194:195]
	v_mul_f64 v[203:204], v[164:165], s[14:15]
	v_add_f64 v[142:143], v[126:127], v[142:143]
	v_fma_f64 v[207:208], v[172:173], s[12:13], v[156:157]
	v_add_f64 v[42:43], v[124:125], v[42:43]
	v_add_f64 v[132:133], v[213:214], v[132:133]
	;; [unrolled: 1-line block ×3, first 2 shown]
	v_fma_f64 v[154:155], v[182:183], s[18:19], v[205:206]
	v_mul_f64 v[205:206], v[176:177], s[14:15]
	v_fma_f64 v[213:214], v[178:179], s[12:13], -v[201:202]
	v_add_f64 v[194:195], v[124:125], v[194:195]
	v_mul_f64 v[215:216], v[136:137], s[34:35]
	v_fma_f64 v[217:218], v[174:175], s[16:17], v[203:204]
	v_add_f64 v[207:208], v[126:127], v[207:208]
	v_add_f64 v[142:143], v[142:143], v[168:169]
	;; [unrolled: 1-line block ×3, first 2 shown]
	v_mul_f64 v[128:129], v[188:189], s[14:15]
	v_fma_f64 v[199:200], v[48:49], s[16:17], -v[199:200]
	v_fma_f64 v[211:212], v[186:187], s[12:13], v[211:212]
	v_mul_f64 v[219:220], v[180:181], s[34:35]
	v_fma_f64 v[221:222], v[182:183], s[16:17], -v[205:206]
	v_add_f64 v[213:214], v[124:125], v[213:214]
	v_add_f64 v[154:155], v[154:155], v[194:195]
	v_mul_f64 v[194:195], v[152:153], s[30:31]
	v_fma_f64 v[223:224], v[138:139], s[18:19], v[215:216]
	v_add_f64 v[207:208], v[217:218], v[207:208]
	v_fma_f64 v[156:157], v[172:173], s[12:13], -v[156:157]
	v_add_f64 v[70:71], v[142:143], v[70:71]
	v_add_f64 v[42:43], v[42:43], v[72:73]
	v_fma_f64 v[158:159], v[192:193], s[16:17], -v[128:129]
	v_fma_f64 v[209:210], v[190:191], s[22:23], v[209:210]
	v_fma_f64 v[225:226], v[186:187], s[18:19], -v[219:220]
	v_add_f64 v[213:214], v[221:222], v[213:214]
	v_add_f64 v[154:155], v[211:212], v[154:155]
	v_mul_f64 v[211:212], v[150:151], s[26:27]
	v_fma_f64 v[221:222], v[46:47], s[24:25], v[194:195]
	v_add_f64 v[207:208], v[223:224], v[207:208]
	v_fma_f64 v[203:204], v[174:175], s[16:17], -v[203:204]
	v_add_f64 v[156:157], v[126:127], v[156:157]
	v_add_f64 v[134:135], v[199:200], v[134:135]
	v_fma_f64 v[199:200], v[178:179], s[12:13], v[201:202]
	v_mul_f64 v[166:167], v[166:167], s[28:29]
	v_add_f64 v[70:71], v[70:71], v[146:147]
	v_add_f64 v[42:43], v[42:43], v[144:145]
	v_mul_f64 v[144:145], v[170:171], s[28:29]
	v_add_f64 v[213:214], v[225:226], v[213:214]
	v_fma_f64 v[225:226], v[192:193], s[16:17], v[128:129]
	v_add_f64 v[154:155], v[209:210], v[154:155]
	v_fma_f64 v[209:210], v[48:49], s[22:23], v[211:212]
	v_add_f64 v[207:208], v[221:222], v[207:208]
	v_add_f64 v[128:129], v[158:159], v[132:133]
	v_fma_f64 v[158:159], v[138:139], s[18:19], -v[215:216]
	v_add_f64 v[201:202], v[203:204], v[156:157]
	v_fma_f64 v[203:204], v[182:183], s[16:17], v[205:206]
	v_add_f64 v[199:200], v[124:125], v[199:200]
	v_mul_f64 v[164:165], v[164:165], s[6:7]
	v_fma_f64 v[205:206], v[172:173], s[22:23], v[166:167]
	v_fma_f64 v[166:167], v[172:173], s[22:23], -v[166:167]
	v_add_f64 v[70:71], v[70:71], v[148:149]
	v_add_f64 v[42:43], v[42:43], v[62:63]
	v_mul_f64 v[170:171], v[176:177], s[6:7]
	v_fma_f64 v[62:63], v[178:179], s[22:23], v[144:145]
	v_fma_f64 v[144:145], v[178:179], s[22:23], -v[144:145]
	v_mul_f64 v[217:218], v[184:185], s[30:31]
	v_add_f64 v[156:157], v[209:210], v[207:208]
	v_fma_f64 v[194:195], v[46:47], s[24:25], -v[194:195]
	v_add_f64 v[158:159], v[158:159], v[201:202]
	v_fma_f64 v[207:208], v[186:187], s[18:19], v[219:220]
	v_add_f64 v[199:200], v[203:204], v[199:200]
	v_mul_f64 v[136:137], v[136:137], s[0:1]
	v_fma_f64 v[140:141], v[174:175], s[12:13], v[164:165]
	v_add_f64 v[168:169], v[126:127], v[205:206]
	v_fma_f64 v[164:165], v[174:175], s[12:13], -v[164:165]
	v_add_f64 v[126:127], v[126:127], v[166:167]
	v_add_f64 v[70:71], v[70:71], v[74:75]
	v_add_f64 v[42:43], v[42:43], v[50:51]
	v_mul_f64 v[148:149], v[180:181], s[0:1]
	v_fma_f64 v[166:167], v[182:183], s[12:13], v[170:171]
	v_add_f64 v[50:51], v[124:125], v[62:63]
	v_fma_f64 v[62:63], v[182:183], s[12:13], -v[170:171]
	v_add_f64 v[74:75], v[124:125], v[144:145]
	v_add_f64 v[158:159], v[194:195], v[158:159]
	v_fma_f64 v[194:195], v[190:191], s[24:25], v[217:218]
	v_add_f64 v[199:200], v[207:208], v[199:200]
	v_mul_f64 v[152:153], v[152:153], s[14:15]
	v_fma_f64 v[124:125], v[138:139], s[24:25], -v[136:137]
	v_add_f64 v[126:127], v[164:165], v[126:127]
	v_add_f64 v[66:67], v[70:71], v[66:67]
	;; [unrolled: 1-line block ×3, first 2 shown]
	v_fma_f64 v[72:73], v[138:139], s[24:25], v[136:137]
	v_add_f64 v[140:141], v[140:141], v[168:169]
	v_mul_f64 v[146:147], v[184:185], s[14:15]
	v_fma_f64 v[136:137], v[186:187], s[24:25], v[148:149]
	v_add_f64 v[50:51], v[166:167], v[50:51]
	v_fma_f64 v[64:65], v[186:187], s[24:25], -v[148:149]
	v_add_f64 v[62:63], v[62:63], v[74:75]
	v_mul_f64 v[150:151], v[150:151], s[20:21]
	v_add_f64 v[168:169], v[194:195], v[199:200]
	v_fma_f64 v[199:200], v[46:47], s[16:17], v[152:153]
	v_fma_f64 v[46:47], v[46:47], s[16:17], -v[152:153]
	v_add_f64 v[70:71], v[124:125], v[126:127]
	v_add_f64 v[44:45], v[66:67], v[44:45]
	;; [unrolled: 1-line block ×4, first 2 shown]
	v_mul_f64 v[140:141], v[188:189], s[20:21]
	v_fma_f64 v[74:75], v[190:191], s[16:17], v[146:147]
	v_add_f64 v[50:51], v[136:137], v[50:51]
	v_mul_f64 v[223:224], v[188:189], s[26:27]
	v_fma_f64 v[60:61], v[190:191], s[16:17], -v[146:147]
	v_add_f64 v[62:63], v[64:65], v[62:63]
	v_fma_f64 v[227:228], v[190:191], s[24:25], -v[217:218]
	v_fma_f64 v[201:202], v[48:49], s[22:23], -v[211:212]
	v_fma_f64 v[194:195], v[48:49], s[18:19], v[150:151]
	v_fma_f64 v[48:49], v[48:49], s[18:19], -v[150:151]
	v_add_f64 v[46:47], v[46:47], v[70:71]
	v_add_f64 v[36:37], v[44:45], v[36:37]
	;; [unrolled: 1-line block ×3, first 2 shown]
	v_fma_f64 v[64:65], v[192:193], s[18:19], v[140:141]
	v_add_f64 v[66:67], v[74:75], v[50:51]
	v_fma_f64 v[142:143], v[192:193], s[22:23], v[223:224]
	v_fma_f64 v[70:71], v[192:193], s[18:19], -v[140:141]
	v_add_f64 v[60:61], v[60:61], v[62:63]
	v_fma_f64 v[221:222], v[192:193], s[22:23], -v[223:224]
	v_add_f64 v[213:214], v[227:228], v[213:214]
	v_add_f64 v[68:69], v[199:200], v[72:73]
	;; [unrolled: 1-line block ×10, first 2 shown]
	v_mul_u32_u24_e32 v60, 0x63, v198
	v_add_u32_sdwa v60, v60, v248 dst_sel:DWORD dst_unused:UNUSED_PAD src0_sel:DWORD src1_sel:BYTE_0
	v_lshl_add_u32 v60, v60, 4, v247
	v_add_f64 v[154:155], v[221:222], v[213:214]
	v_add_f64 v[38:39], v[194:195], v[68:69]
	ds_write_b128 v60, v[48:51]
	ds_write_b128 v60, v[44:47] offset:144
	ds_write_b128 v60, v[40:43] offset:288
	;; [unrolled: 1-line block ×10, first 2 shown]
.LBB0_9:
	s_or_b64 exec, exec, s[2:3]
	s_waitcnt lgkmcnt(0)
	s_barrier
	ds_read_b128 v[36:39], v197 offset:4752
	ds_read_b128 v[40:43], v197
	ds_read_b128 v[44:47], v197 offset:1584
	ds_read_b128 v[48:51], v197 offset:9504
	;; [unrolled: 1-line block ×4, first 2 shown]
	s_waitcnt lgkmcnt(5)
	v_mul_f64 v[72:73], v[90:91], v[38:39]
	ds_read_b128 v[60:63], v197 offset:6336
	ds_read_b128 v[64:67], v197 offset:7920
	s_waitcnt lgkmcnt(4)
	v_mul_f64 v[76:77], v[86:87], v[50:51]
	v_mul_f64 v[74:75], v[90:91], v[36:37]
	;; [unrolled: 1-line block ×3, first 2 shown]
	s_waitcnt lgkmcnt(1)
	v_mul_f64 v[80:81], v[90:91], v[62:63]
	v_mul_f64 v[82:83], v[90:91], v[60:61]
	v_fma_f64 v[72:73], v[88:89], v[36:37], v[72:73]
	v_mul_f64 v[36:37], v[86:87], v[54:55]
	ds_read_b128 v[68:71], v197 offset:12672
	v_fma_f64 v[48:49], v[84:85], v[48:49], v[76:77]
	v_fma_f64 v[38:39], v[88:89], v[38:39], -v[74:75]
	v_fma_f64 v[50:51], v[84:85], v[50:51], -v[78:79]
	v_mul_f64 v[74:75], v[86:87], v[52:53]
	v_fma_f64 v[76:77], v[88:89], v[60:61], v[80:81]
	s_waitcnt lgkmcnt(1)
	v_mul_f64 v[60:61], v[98:99], v[66:67]
	v_mul_f64 v[78:79], v[98:99], v[64:65]
	v_fma_f64 v[62:63], v[88:89], v[62:63], -v[82:83]
	v_add_f64 v[80:81], v[72:73], v[48:49]
	v_fma_f64 v[82:83], v[84:85], v[52:53], v[36:37]
	s_waitcnt lgkmcnt(0)
	v_mul_f64 v[36:37], v[94:95], v[70:71]
	v_fma_f64 v[54:55], v[84:85], v[54:55], -v[74:75]
	v_mul_f64 v[52:53], v[94:95], v[68:69]
	v_add_f64 v[74:75], v[40:41], v[72:73]
	v_fma_f64 v[64:65], v[96:97], v[64:65], v[60:61]
	v_fma_f64 v[66:67], v[96:97], v[66:67], -v[78:79]
	v_fma_f64 v[60:61], v[80:81], -0.5, v[40:41]
	v_add_f64 v[80:81], v[38:39], v[50:51]
	v_add_f64 v[78:79], v[38:39], -v[50:51]
	v_fma_f64 v[68:69], v[92:93], v[68:69], v[36:37]
	v_fma_f64 v[70:71], v[92:93], v[70:71], -v[52:53]
	v_add_f64 v[36:37], v[74:75], v[48:49]
	v_add_f64 v[52:53], v[76:77], v[82:83]
	;; [unrolled: 1-line block ×3, first 2 shown]
	v_add_f64 v[72:73], v[72:73], -v[48:49]
	v_fma_f64 v[74:75], v[80:81], -0.5, v[42:43]
	s_mov_b32 s0, 0xe8584caa
	s_mov_b32 s1, 0xbfebb67a
	;; [unrolled: 1-line block ×4, first 2 shown]
	v_fma_f64 v[40:41], v[78:79], s[0:1], v[60:61]
	v_fma_f64 v[48:49], v[78:79], s[2:3], v[60:61]
	v_add_f64 v[78:79], v[62:63], v[54:55]
	v_add_f64 v[80:81], v[44:45], v[76:77]
	v_fma_f64 v[84:85], v[52:53], -0.5, v[44:45]
	v_add_f64 v[86:87], v[62:63], -v[54:55]
	v_add_f64 v[38:39], v[38:39], v[50:51]
	v_fma_f64 v[42:43], v[72:73], s[2:3], v[74:75]
	v_fma_f64 v[50:51], v[72:73], s[0:1], v[74:75]
	v_add_f64 v[72:73], v[64:65], v[68:69]
	v_add_f64 v[74:75], v[66:67], v[70:71]
	;; [unrolled: 1-line block ×3, first 2 shown]
	v_fma_f64 v[78:79], v[78:79], -0.5, v[46:47]
	v_add_f64 v[76:77], v[76:77], -v[82:83]
	v_add_f64 v[44:45], v[80:81], v[82:83]
	v_add_f64 v[80:81], v[56:57], v[64:65]
	v_add_f64 v[82:83], v[66:67], -v[70:71]
	v_add_f64 v[66:67], v[58:59], v[66:67]
	v_fma_f64 v[52:53], v[86:87], s[0:1], v[84:85]
	v_fma_f64 v[60:61], v[86:87], s[2:3], v[84:85]
	v_fma_f64 v[72:73], v[72:73], -0.5, v[56:57]
	v_fma_f64 v[74:75], v[74:75], -0.5, v[58:59]
	v_add_f64 v[84:85], v[64:65], -v[68:69]
	v_add_f64 v[46:47], v[62:63], v[54:55]
	v_fma_f64 v[54:55], v[76:77], s[2:3], v[78:79]
	v_fma_f64 v[62:63], v[76:77], s[0:1], v[78:79]
	v_add_f64 v[56:57], v[80:81], v[68:69]
	v_add_f64 v[58:59], v[66:67], v[70:71]
	v_fma_f64 v[64:65], v[82:83], s[0:1], v[72:73]
	v_fma_f64 v[68:69], v[82:83], s[2:3], v[72:73]
	;; [unrolled: 1-line block ×4, first 2 shown]
	s_barrier
	ds_write_b128 v197, v[36:39]
	ds_write_b128 v197, v[40:43] offset:1584
	ds_write_b128 v197, v[48:51] offset:3168
	ds_write_b128 v197, v[44:47] offset:4752
	ds_write_b128 v197, v[52:55] offset:6336
	ds_write_b128 v197, v[60:63] offset:7920
	ds_write_b128 v161, v[56:59] offset:9504
	ds_write_b128 v161, v[64:67] offset:11088
	ds_write_b128 v161, v[68:71] offset:12672
	s_waitcnt lgkmcnt(0)
	s_barrier
	ds_read_b128 v[36:39], v197 offset:4752
	ds_read_b128 v[40:43], v197
	ds_read_b128 v[44:47], v197 offset:1584
	ds_read_b128 v[48:51], v197 offset:3168
	;; [unrolled: 1-line block ×4, first 2 shown]
	s_waitcnt lgkmcnt(5)
	v_mul_f64 v[72:73], v[106:107], v[38:39]
	v_mul_f64 v[74:75], v[106:107], v[36:37]
	ds_read_b128 v[60:63], v197 offset:6336
	ds_read_b128 v[64:67], v197 offset:7920
	s_waitcnt lgkmcnt(3)
	v_mul_f64 v[76:77], v[102:103], v[54:55]
	v_mul_f64 v[78:79], v[102:103], v[52:53]
	s_waitcnt lgkmcnt(2)
	v_mul_f64 v[80:81], v[110:111], v[58:59]
	ds_read_b128 v[68:71], v197 offset:12672
	v_fma_f64 v[36:37], v[104:105], v[36:37], v[72:73]
	s_waitcnt lgkmcnt(2)
	v_mul_f64 v[72:73], v[118:119], v[62:63]
	v_fma_f64 v[38:39], v[104:105], v[38:39], -v[74:75]
	v_mul_f64 v[74:75], v[118:119], v[60:61]
	v_fma_f64 v[52:53], v[100:101], v[52:53], v[76:77]
	v_mul_f64 v[76:77], v[110:111], v[56:57]
	v_fma_f64 v[54:55], v[100:101], v[54:55], -v[78:79]
	s_waitcnt lgkmcnt(1)
	v_mul_f64 v[78:79], v[122:123], v[66:67]
	v_fma_f64 v[72:73], v[116:117], v[60:61], v[72:73]
	v_mul_f64 v[60:61], v[122:123], v[64:65]
	v_fma_f64 v[62:63], v[116:117], v[62:63], -v[74:75]
	v_fma_f64 v[74:75], v[108:109], v[56:57], v[80:81]
	v_fma_f64 v[58:59], v[108:109], v[58:59], -v[76:77]
	s_waitcnt lgkmcnt(0)
	v_mul_f64 v[76:77], v[114:115], v[70:71]
	v_add_f64 v[56:57], v[36:37], v[52:53]
	v_fma_f64 v[64:65], v[120:121], v[64:65], v[78:79]
	v_mul_f64 v[78:79], v[114:115], v[68:69]
	v_fma_f64 v[66:67], v[120:121], v[66:67], -v[60:61]
	v_add_f64 v[60:61], v[38:39], v[54:55]
	v_add_f64 v[80:81], v[40:41], v[36:37]
	v_add_f64 v[82:83], v[38:39], -v[54:55]
	v_fma_f64 v[68:69], v[112:113], v[68:69], v[76:77]
	v_add_f64 v[76:77], v[72:73], v[74:75]
	v_fma_f64 v[56:57], v[56:57], -0.5, v[40:41]
	v_fma_f64 v[70:71], v[112:113], v[70:71], -v[78:79]
	v_add_f64 v[38:39], v[42:43], v[38:39]
	v_fma_f64 v[60:61], v[60:61], -0.5, v[42:43]
	v_add_f64 v[78:79], v[36:37], -v[52:53]
	v_add_f64 v[84:85], v[62:63], -v[58:59]
	v_add_f64 v[36:37], v[80:81], v[52:53]
	v_fma_f64 v[76:77], v[76:77], -0.5, v[44:45]
	v_fma_f64 v[40:41], v[82:83], s[0:1], v[56:57]
	v_add_f64 v[80:81], v[44:45], v[72:73]
	v_fma_f64 v[52:53], v[82:83], s[2:3], v[56:57]
	v_add_f64 v[82:83], v[62:63], v[58:59]
	v_add_f64 v[38:39], v[38:39], v[54:55]
	v_fma_f64 v[42:43], v[78:79], s[2:3], v[60:61]
	v_fma_f64 v[54:55], v[78:79], s[0:1], v[60:61]
	v_add_f64 v[78:79], v[64:65], v[68:69]
	v_fma_f64 v[56:57], v[84:85], s[0:1], v[76:77]
	v_fma_f64 v[60:61], v[84:85], s[2:3], v[76:77]
	v_add_f64 v[76:77], v[66:67], v[70:71]
	v_add_f64 v[62:63], v[46:47], v[62:63]
	;; [unrolled: 1-line block ×3, first 2 shown]
	v_fma_f64 v[80:81], v[82:83], -0.5, v[46:47]
	v_add_f64 v[72:73], v[72:73], -v[74:75]
	v_add_f64 v[74:75], v[48:49], v[64:65]
	v_add_f64 v[82:83], v[66:67], -v[70:71]
	v_add_f64 v[66:67], v[50:51], v[66:67]
	v_fma_f64 v[78:79], v[78:79], -0.5, v[48:49]
	v_fma_f64 v[76:77], v[76:77], -0.5, v[50:51]
	v_add_f64 v[84:85], v[64:65], -v[68:69]
	v_add_f64 v[46:47], v[62:63], v[58:59]
	v_fma_f64 v[58:59], v[72:73], s[2:3], v[80:81]
	v_fma_f64 v[62:63], v[72:73], s[0:1], v[80:81]
	v_add_f64 v[48:49], v[74:75], v[68:69]
	v_add_f64 v[50:51], v[66:67], v[70:71]
	v_fma_f64 v[64:65], v[82:83], s[0:1], v[78:79]
	v_fma_f64 v[68:69], v[82:83], s[2:3], v[78:79]
	;; [unrolled: 1-line block ×4, first 2 shown]
	ds_write_b128 v197, v[36:39]
	ds_write_b128 v197, v[40:43] offset:4752
	ds_write_b128 v197, v[52:55] offset:9504
	ds_write_b128 v197, v[44:47] offset:1584
	ds_write_b128 v162, v[56:59] offset:6336
	ds_write_b128 v162, v[60:63] offset:11088
	ds_write_b128 v197, v[48:51] offset:3168
	ds_write_b128 v163, v[64:67] offset:4752
	ds_write_b128 v163, v[68:71] offset:9504
	s_waitcnt lgkmcnt(0)
	s_barrier
	ds_read_b128 v[36:39], v197
	ds_read_b128 v[40:43], v197 offset:1584
	v_mad_u64_u32 v[44:45], s[0:1], s10, v160, 0
	s_mul_i32 s2, s9, 0x630
	s_waitcnt lgkmcnt(1)
	v_mul_f64 v[46:47], v[34:35], v[38:39]
	v_mul_f64 v[34:35], v[34:35], v[36:37]
	s_mul_hi_u32 s3, s8, 0x630
	s_add_i32 s2, s3, s2
	s_mul_i32 s3, s8, 0x630
	v_mad_u64_u32 v[48:49], s[0:1], s11, v160, v[45:46]
	v_mad_u64_u32 v[49:50], s[0:1], s8, v255, 0
	v_fma_f64 v[36:37], v[32:33], v[36:37], v[46:47]
	v_fma_f64 v[34:35], v[32:33], v[38:39], -v[34:35]
	v_mov_b32_e32 v32, v50
	v_mad_u64_u32 v[38:39], s[0:1], s9, v255, v[32:33]
	s_mov_b32 s0, 0x7210aa18
	s_mov_b32 s1, 0x3f526369
	v_mov_b32_e32 v50, v38
	s_waitcnt lgkmcnt(0)
	v_mul_f64 v[38:39], v[22:23], v[42:43]
	v_mul_f64 v[22:23], v[22:23], v[40:41]
	v_mov_b32_e32 v45, v48
	v_mul_f64 v[32:33], v[36:37], s[0:1]
	v_mul_f64 v[34:35], v[34:35], s[0:1]
	v_lshlrev_b64 v[36:37], 4, v[44:45]
	v_mov_b32_e32 v44, s5
	v_add_co_u32_e32 v45, vcc, s4, v36
	v_fma_f64 v[38:39], v[20:21], v[40:41], v[38:39]
	v_fma_f64 v[40:41], v[20:21], v[42:43], -v[22:23]
	ds_read_b128 v[20:23], v197 offset:3168
	v_addc_co_u32_e32 v44, vcc, v44, v37, vcc
	v_lshlrev_b64 v[36:37], 4, v[49:50]
	v_mov_b32_e32 v46, s2
	v_add_co_u32_e32 v42, vcc, v45, v36
	v_addc_co_u32_e32 v43, vcc, v44, v37, vcc
	global_store_dwordx4 v[42:43], v[32:35], off
	v_add_co_u32_e32 v42, vcc, s3, v42
	v_mul_f64 v[32:33], v[38:39], s[0:1]
	ds_read_b128 v[36:39], v197 offset:4752
	s_waitcnt lgkmcnt(1)
	v_mul_f64 v[44:45], v[6:7], v[22:23]
	v_mul_f64 v[6:7], v[6:7], v[20:21]
	v_mul_f64 v[34:35], v[40:41], s[0:1]
	v_addc_co_u32_e32 v43, vcc, v43, v46, vcc
	s_waitcnt lgkmcnt(0)
	v_mul_f64 v[40:41], v[30:31], v[38:39]
	v_mul_f64 v[30:31], v[30:31], v[36:37]
	v_fma_f64 v[20:21], v[4:5], v[20:21], v[44:45]
	v_fma_f64 v[6:7], v[4:5], v[22:23], -v[6:7]
	global_store_dwordx4 v[42:43], v[32:35], off
	v_mov_b32_e32 v44, s2
	v_fma_f64 v[32:33], v[28:29], v[36:37], v[40:41]
	v_fma_f64 v[34:35], v[28:29], v[38:39], -v[30:31]
	ds_read_b128 v[28:31], v197 offset:7920
	v_mul_f64 v[4:5], v[20:21], s[0:1]
	ds_read_b128 v[20:23], v197 offset:6336
	v_mul_f64 v[6:7], v[6:7], s[0:1]
	v_add_co_u32_e32 v38, vcc, s3, v42
	v_addc_co_u32_e32 v39, vcc, v43, v44, vcc
	s_waitcnt lgkmcnt(0)
	v_mul_f64 v[36:37], v[14:15], v[22:23]
	v_mul_f64 v[14:15], v[14:15], v[20:21]
	global_store_dwordx4 v[38:39], v[4:7], off
	s_nop 0
	v_mul_f64 v[4:5], v[32:33], s[0:1]
	v_mul_f64 v[6:7], v[34:35], s[0:1]
	v_mov_b32_e32 v33, s2
	v_add_co_u32_e32 v32, vcc, s3, v38
	v_fma_f64 v[20:21], v[12:13], v[20:21], v[36:37]
	v_fma_f64 v[12:13], v[12:13], v[22:23], -v[14:15]
	v_mul_f64 v[14:15], v[10:11], v[30:31]
	v_mul_f64 v[22:23], v[10:11], v[28:29]
	v_addc_co_u32_e32 v33, vcc, v39, v33, vcc
	global_store_dwordx4 v[32:33], v[4:7], off
	v_mov_b32_e32 v34, s2
	v_mul_f64 v[4:5], v[20:21], s[0:1]
	v_mul_f64 v[6:7], v[12:13], s[0:1]
	ds_read_b128 v[10:13], v197 offset:9504
	v_fma_f64 v[14:15], v[8:9], v[28:29], v[14:15]
	v_fma_f64 v[8:9], v[8:9], v[30:31], -v[22:23]
	ds_read_b128 v[20:23], v197 offset:11088
	v_add_co_u32_e32 v30, vcc, s3, v32
	s_waitcnt lgkmcnt(1)
	v_mul_f64 v[28:29], v[26:27], v[12:13]
	v_mul_f64 v[26:27], v[26:27], v[10:11]
	v_addc_co_u32_e32 v31, vcc, v33, v34, vcc
	global_store_dwordx4 v[30:31], v[4:7], off
	v_mov_b32_e32 v32, s2
	v_mul_f64 v[4:5], v[14:15], s[0:1]
	v_mul_f64 v[6:7], v[8:9], s[0:1]
	v_fma_f64 v[14:15], v[24:25], v[10:11], v[28:29]
	ds_read_b128 v[8:11], v197 offset:12672
	v_fma_f64 v[12:13], v[24:25], v[12:13], -v[26:27]
	s_waitcnt lgkmcnt(1)
	v_mul_f64 v[26:27], v[2:3], v[22:23]
	v_mul_f64 v[28:29], v[2:3], v[20:21]
	v_add_co_u32_e32 v24, vcc, s3, v30
	v_addc_co_u32_e32 v25, vcc, v31, v32, vcc
	s_waitcnt lgkmcnt(0)
	v_mul_f64 v[30:31], v[18:19], v[10:11]
	v_mul_f64 v[18:19], v[18:19], v[8:9]
	global_store_dwordx4 v[24:25], v[4:7], off
	v_mul_f64 v[2:3], v[14:15], s[0:1]
	v_mul_f64 v[4:5], v[12:13], s[0:1]
	v_fma_f64 v[6:7], v[0:1], v[20:21], v[26:27]
	v_fma_f64 v[12:13], v[0:1], v[22:23], -v[28:29]
	v_mov_b32_e32 v15, s2
	v_fma_f64 v[8:9], v[16:17], v[8:9], v[30:31]
	v_fma_f64 v[10:11], v[16:17], v[10:11], -v[18:19]
	v_add_co_u32_e32 v14, vcc, s3, v24
	v_addc_co_u32_e32 v15, vcc, v25, v15, vcc
	global_store_dwordx4 v[14:15], v[2:5], off
	v_mul_f64 v[0:1], v[6:7], s[0:1]
	v_mul_f64 v[2:3], v[12:13], s[0:1]
	;; [unrolled: 1-line block ×4, first 2 shown]
	v_mov_b32_e32 v12, s2
	v_add_co_u32_e32 v8, vcc, s3, v14
	v_addc_co_u32_e32 v9, vcc, v15, v12, vcc
	global_store_dwordx4 v[8:9], v[0:3], off
	s_nop 0
	v_mov_b32_e32 v1, s2
	v_add_co_u32_e32 v0, vcc, s3, v8
	v_addc_co_u32_e32 v1, vcc, v9, v1, vcc
	global_store_dwordx4 v[0:1], v[4:7], off
.LBB0_10:
	s_endpgm
	.section	.rodata,"a",@progbits
	.p2align	6, 0x0
	.amdhsa_kernel bluestein_single_fwd_len891_dim1_dp_op_CI_CI
		.amdhsa_group_segment_fixed_size 28512
		.amdhsa_private_segment_fixed_size 164
		.amdhsa_kernarg_size 104
		.amdhsa_user_sgpr_count 6
		.amdhsa_user_sgpr_private_segment_buffer 1
		.amdhsa_user_sgpr_dispatch_ptr 0
		.amdhsa_user_sgpr_queue_ptr 0
		.amdhsa_user_sgpr_kernarg_segment_ptr 1
		.amdhsa_user_sgpr_dispatch_id 0
		.amdhsa_user_sgpr_flat_scratch_init 0
		.amdhsa_user_sgpr_private_segment_size 0
		.amdhsa_uses_dynamic_stack 0
		.amdhsa_system_sgpr_private_segment_wavefront_offset 1
		.amdhsa_system_sgpr_workgroup_id_x 1
		.amdhsa_system_sgpr_workgroup_id_y 0
		.amdhsa_system_sgpr_workgroup_id_z 0
		.amdhsa_system_sgpr_workgroup_info 0
		.amdhsa_system_vgpr_workitem_id 0
		.amdhsa_next_free_vgpr 256
		.amdhsa_next_free_sgpr 52
		.amdhsa_reserve_vcc 1
		.amdhsa_reserve_flat_scratch 0
		.amdhsa_float_round_mode_32 0
		.amdhsa_float_round_mode_16_64 0
		.amdhsa_float_denorm_mode_32 3
		.amdhsa_float_denorm_mode_16_64 3
		.amdhsa_dx10_clamp 1
		.amdhsa_ieee_mode 1
		.amdhsa_fp16_overflow 0
		.amdhsa_exception_fp_ieee_invalid_op 0
		.amdhsa_exception_fp_denorm_src 0
		.amdhsa_exception_fp_ieee_div_zero 0
		.amdhsa_exception_fp_ieee_overflow 0
		.amdhsa_exception_fp_ieee_underflow 0
		.amdhsa_exception_fp_ieee_inexact 0
		.amdhsa_exception_int_div_zero 0
	.end_amdhsa_kernel
	.text
.Lfunc_end0:
	.size	bluestein_single_fwd_len891_dim1_dp_op_CI_CI, .Lfunc_end0-bluestein_single_fwd_len891_dim1_dp_op_CI_CI
                                        ; -- End function
	.section	.AMDGPU.csdata,"",@progbits
; Kernel info:
; codeLenInByte = 15060
; NumSgprs: 56
; NumVgprs: 256
; ScratchSize: 164
; MemoryBound: 0
; FloatMode: 240
; IeeeMode: 1
; LDSByteSize: 28512 bytes/workgroup (compile time only)
; SGPRBlocks: 6
; VGPRBlocks: 63
; NumSGPRsForWavesPerEU: 56
; NumVGPRsForWavesPerEU: 256
; Occupancy: 1
; WaveLimiterHint : 1
; COMPUTE_PGM_RSRC2:SCRATCH_EN: 1
; COMPUTE_PGM_RSRC2:USER_SGPR: 6
; COMPUTE_PGM_RSRC2:TRAP_HANDLER: 0
; COMPUTE_PGM_RSRC2:TGID_X_EN: 1
; COMPUTE_PGM_RSRC2:TGID_Y_EN: 0
; COMPUTE_PGM_RSRC2:TGID_Z_EN: 0
; COMPUTE_PGM_RSRC2:TIDIG_COMP_CNT: 0
	.type	__hip_cuid_fad58138d57db53,@object ; @__hip_cuid_fad58138d57db53
	.section	.bss,"aw",@nobits
	.globl	__hip_cuid_fad58138d57db53
__hip_cuid_fad58138d57db53:
	.byte	0                               ; 0x0
	.size	__hip_cuid_fad58138d57db53, 1

	.ident	"AMD clang version 19.0.0git (https://github.com/RadeonOpenCompute/llvm-project roc-6.4.0 25133 c7fe45cf4b819c5991fe208aaa96edf142730f1d)"
	.section	".note.GNU-stack","",@progbits
	.addrsig
	.addrsig_sym __hip_cuid_fad58138d57db53
	.amdgpu_metadata
---
amdhsa.kernels:
  - .args:
      - .actual_access:  read_only
        .address_space:  global
        .offset:         0
        .size:           8
        .value_kind:     global_buffer
      - .actual_access:  read_only
        .address_space:  global
        .offset:         8
        .size:           8
        .value_kind:     global_buffer
      - .actual_access:  read_only
        .address_space:  global
        .offset:         16
        .size:           8
        .value_kind:     global_buffer
      - .actual_access:  read_only
        .address_space:  global
        .offset:         24
        .size:           8
        .value_kind:     global_buffer
      - .actual_access:  read_only
        .address_space:  global
        .offset:         32
        .size:           8
        .value_kind:     global_buffer
      - .offset:         40
        .size:           8
        .value_kind:     by_value
      - .address_space:  global
        .offset:         48
        .size:           8
        .value_kind:     global_buffer
      - .address_space:  global
        .offset:         56
        .size:           8
        .value_kind:     global_buffer
      - .address_space:  global
        .offset:         64
        .size:           8
        .value_kind:     global_buffer
      - .address_space:  global
        .offset:         72
        .size:           8
        .value_kind:     global_buffer
      - .offset:         80
        .size:           4
        .value_kind:     by_value
      - .address_space:  global
        .offset:         88
        .size:           8
        .value_kind:     global_buffer
      - .address_space:  global
        .offset:         96
        .size:           8
        .value_kind:     global_buffer
    .group_segment_fixed_size: 28512
    .kernarg_segment_align: 8
    .kernarg_segment_size: 104
    .language:       OpenCL C
    .language_version:
      - 2
      - 0
    .max_flat_workgroup_size: 198
    .name:           bluestein_single_fwd_len891_dim1_dp_op_CI_CI
    .private_segment_fixed_size: 164
    .sgpr_count:     56
    .sgpr_spill_count: 0
    .symbol:         bluestein_single_fwd_len891_dim1_dp_op_CI_CI.kd
    .uniform_work_group_size: 1
    .uses_dynamic_stack: false
    .vgpr_count:     256
    .vgpr_spill_count: 40
    .wavefront_size: 64
amdhsa.target:   amdgcn-amd-amdhsa--gfx906
amdhsa.version:
  - 1
  - 2
...

	.end_amdgpu_metadata
